;; amdgpu-corpus repo=ROCm/rocFFT kind=compiled arch=gfx90a opt=O3
	.text
	.amdgcn_target "amdgcn-amd-amdhsa--gfx90a"
	.amdhsa_code_object_version 6
	.protected	bluestein_single_back_len1911_dim1_dp_op_CI_CI ; -- Begin function bluestein_single_back_len1911_dim1_dp_op_CI_CI
	.globl	bluestein_single_back_len1911_dim1_dp_op_CI_CI
	.p2align	8
	.type	bluestein_single_back_len1911_dim1_dp_op_CI_CI,@function
bluestein_single_back_len1911_dim1_dp_op_CI_CI: ; @bluestein_single_back_len1911_dim1_dp_op_CI_CI
; %bb.0:
	s_load_dwordx4 s[8:11], s[4:5], 0x28
	v_mul_u32_u24_e32 v1, 0x2d1, v0
	v_add_u32_sdwa v6, s6, v1 dst_sel:DWORD dst_unused:UNUSED_PAD src0_sel:DWORD src1_sel:WORD_1
	v_mov_b32_e32 v7, 0
	s_waitcnt lgkmcnt(0)
	v_cmp_gt_u64_e32 vcc, s[8:9], v[6:7]
	s_and_saveexec_b64 s[0:1], vcc
	s_cbranch_execz .LBB0_15
; %bb.1:
	s_load_dwordx4 s[0:3], s[4:5], 0x18
	s_load_dwordx2 s[16:17], s[4:5], 0x0
	v_accvgpr_write_b32 a2, v6
	s_waitcnt lgkmcnt(0)
	s_load_dwordx4 s[12:15], s[0:1], 0x0
	s_movk_i32 s0, 0x5b
	v_mul_lo_u16_sdwa v1, v1, s0 dst_sel:DWORD dst_unused:UNUSED_PAD src0_sel:WORD_1 src1_sel:DWORD
	v_sub_u16_e32 v31, v0, v1
	v_lshlrev_b32_e32 v126, 4, v31
	s_waitcnt lgkmcnt(0)
	v_mad_u64_u32 v[0:1], s[0:1], s14, v6, 0
	v_mov_b32_e32 v4, v1
	v_mad_u64_u32 v[2:3], s[0:1], s12, v31, 0
	v_mad_u64_u32 v[4:5], s[0:1], s15, v6, v[4:5]
	v_mov_b32_e32 v1, v4
	v_mov_b32_e32 v4, v3
	v_mad_u64_u32 v[4:5], s[0:1], s13, v31, v[4:5]
	v_lshlrev_b64 v[0:1], 4, v[0:1]
	v_mov_b32_e32 v3, v4
	v_mov_b32_e32 v4, s11
	v_add_co_u32_e32 v5, vcc, s10, v0
	v_addc_co_u32_e32 v4, vcc, v4, v1, vcc
	v_lshlrev_b64 v[0:1], 4, v[2:3]
	s_mul_i32 s6, s13, 0x93
	s_mul_hi_u32 s7, s12, 0x93
	v_add_co_u32_e32 v8, vcc, v5, v0
	v_mov_b32_e32 v0, s17
	v_add_co_u32_e64 v108, s[0:1], s16, v126
	s_add_i32 s7, s7, s6
	s_mul_i32 s6, s12, 0x93
	v_addc_co_u32_e32 v9, vcc, v4, v1, vcc
	v_addc_co_u32_e64 v109, vcc, 0, v0, s[0:1]
	s_lshl_b64 s[14:15], s[6:7], 4
	v_mov_b32_e32 v30, s15
	v_add_co_u32_e32 v10, vcc, s14, v8
	v_addc_co_u32_e32 v11, vcc, v9, v30, vcc
	v_add_co_u32_e32 v12, vcc, s14, v10
	v_addc_co_u32_e32 v13, vcc, v11, v30, vcc
	s_movk_i32 s6, 0x1000
	v_add_co_u32_e32 v32, vcc, s6, v108
	v_addc_co_u32_e32 v33, vcc, 0, v109, vcc
	v_add_co_u32_e32 v20, vcc, s14, v12
	v_addc_co_u32_e32 v21, vcc, v13, v30, vcc
	;; [unrolled: 2-line block ×3, first 2 shown]
	s_movk_i32 s6, 0x2000
	v_add_co_u32_e32 v38, vcc, s6, v108
	v_addc_co_u32_e32 v39, vcc, 0, v109, vcc
	global_load_dwordx4 v[4:7], v[8:9], off
	global_load_dwordx4 v[0:3], v[10:11], off
	global_load_dwordx4 v[102:105], v126, s[16:17]
	global_load_dwordx4 v[78:81], v126, s[16:17] offset:2352
	s_movk_i32 s6, 0x3000
	global_load_dwordx4 v[8:11], v[12:13], off
	global_load_dwordx4 v[98:101], v[32:33], off offset:608
	global_load_dwordx4 v[86:89], v[32:33], off offset:2960
	global_load_dwordx4 v[16:19], v[20:21], off
	s_nop 0
	global_load_dwordx4 v[12:15], v[22:23], off
	v_add_co_u32_e32 v20, vcc, s14, v22
	v_addc_co_u32_e32 v21, vcc, v23, v30, vcc
	global_load_dwordx4 v[22:25], v[20:21], off
	global_load_dwordx4 v[114:117], v[38:39], off offset:1216
	global_load_dwordx4 v[90:93], v[38:39], off offset:3568
	v_add_co_u32_e32 v20, vcc, s14, v20
	v_addc_co_u32_e32 v21, vcc, v21, v30, vcc
	v_add_co_u32_e32 v40, vcc, s6, v108
	v_addc_co_u32_e32 v41, vcc, 0, v109, vcc
	global_load_dwordx4 v[26:29], v[20:21], off
	v_add_co_u32_e32 v20, vcc, s14, v20
	v_addc_co_u32_e32 v21, vcc, v21, v30, vcc
	s_movk_i32 s6, 0x4000
	v_add_co_u32_e32 v36, vcc, s6, v108
	v_addc_co_u32_e32 v37, vcc, 0, v109, vcc
	global_load_dwordx4 v[46:49], v[20:21], off
	v_add_co_u32_e32 v20, vcc, s14, v20
	v_addc_co_u32_e32 v21, vcc, v21, v30, vcc
	global_load_dwordx4 v[74:77], v[40:41], off offset:1824
	global_load_dwordx4 v[50:53], v[20:21], off
	global_load_dwordx4 v[122:125], v[36:37], off offset:80
	global_load_dwordx4 v[82:85], v[36:37], off offset:2432
	v_add_co_u32_e32 v20, vcc, s14, v20
	v_addc_co_u32_e32 v21, vcc, v21, v30, vcc
	s_movk_i32 s6, 0x5000
	v_add_co_u32_e32 v42, vcc, s6, v108
	v_addc_co_u32_e32 v43, vcc, 0, v109, vcc
	global_load_dwordx4 v[54:57], v[20:21], off
	v_add_co_u32_e32 v20, vcc, s14, v20
	v_addc_co_u32_e32 v21, vcc, v21, v30, vcc
	global_load_dwordx4 v[58:61], v[20:21], off
	global_load_dwordx4 v[128:131], v[42:43], off offset:688
	global_load_dwordx4 v[94:97], v[42:43], off offset:3040
	v_add_co_u32_e32 v20, vcc, s14, v20
	v_addc_co_u32_e32 v21, vcc, v21, v30, vcc
	s_movk_i32 s6, 0x6000
	v_add_co_u32_e32 v44, vcc, s6, v108
	v_addc_co_u32_e32 v45, vcc, 0, v109, vcc
	global_load_dwordx4 v[62:65], v[20:21], off
	global_load_dwordx4 v[110:113], v[44:45], off offset:1296
	v_add_co_u32_e32 v20, vcc, s14, v20
	v_addc_co_u32_e32 v21, vcc, v21, v30, vcc
	global_load_dwordx4 v[66:69], v[20:21], off
	global_load_dwordx4 v[118:121], v[44:45], off offset:3648
	s_load_dwordx2 s[6:7], s[4:5], 0x38
	s_load_dwordx4 s[8:11], s[2:3], 0x0
	v_accvgpr_write_b32 a0, v31
	v_cmp_gt_u16_e32 vcc, 56, v31
	s_waitcnt vmcnt(23)
	v_mul_f64 v[70:71], v[6:7], v[104:105]
	v_fmac_f64_e32 v[70:71], v[4:5], v[102:103]
	v_mul_f64 v[4:5], v[4:5], v[104:105]
	v_fma_f64 v[72:73], v[6:7], v[102:103], -v[4:5]
	s_waitcnt vmcnt(22)
	v_mul_f64 v[4:5], v[2:3], v[80:81]
	v_fmac_f64_e32 v[4:5], v[0:1], v[78:79]
	v_mul_f64 v[0:1], v[0:1], v[80:81]
	v_fma_f64 v[6:7], v[2:3], v[78:79], -v[0:1]
	s_waitcnt vmcnt(20)
	v_mul_f64 v[0:1], v[10:11], v[100:101]
	v_mul_f64 v[2:3], v[8:9], v[100:101]
	v_fmac_f64_e32 v[0:1], v[8:9], v[98:99]
	v_fma_f64 v[2:3], v[10:11], v[98:99], -v[2:3]
	ds_write_b128 v126, v[0:3] offset:4704
	s_waitcnt vmcnt(18)
	v_mul_f64 v[0:1], v[18:19], v[88:89]
	v_mul_f64 v[2:3], v[16:17], v[88:89]
	v_fmac_f64_e32 v[0:1], v[16:17], v[86:87]
	v_fma_f64 v[2:3], v[18:19], v[86:87], -v[2:3]
	ds_write_b128 v126, v[0:3] offset:7056
	;; [unrolled: 6-line block ×4, first 2 shown]
	v_accvgpr_write_b32 a32, v102
	v_accvgpr_write_b32 a8, v78
	;; [unrolled: 1-line block ×6, first 2 shown]
	s_waitcnt vmcnt(11)
	v_mul_f64 v[0:1], v[28:29], v[76:77]
	v_mul_f64 v[2:3], v[26:27], v[76:77]
	v_fmac_f64_e32 v[0:1], v[26:27], v[74:75]
	v_fma_f64 v[2:3], v[28:29], v[74:75], -v[2:3]
	ds_write_b128 v126, v[0:3] offset:14112
	s_waitcnt vmcnt(9)
	v_mul_f64 v[0:1], v[48:49], v[124:125]
	v_mul_f64 v[2:3], v[46:47], v[124:125]
	v_fmac_f64_e32 v[0:1], v[46:47], v[122:123]
	v_fma_f64 v[2:3], v[48:49], v[122:123], -v[2:3]
	ds_write_b128 v126, v[0:3] offset:16464
	;; [unrolled: 6-line block ×5, first 2 shown]
	v_accvgpr_write_b32 a4, v74
	v_accvgpr_write_b32 a48, v122
	s_waitcnt vmcnt(2)
	v_mul_f64 v[0:1], v[64:65], v[112:113]
	v_mul_f64 v[2:3], v[62:63], v[112:113]
	v_fmac_f64_e32 v[0:1], v[62:63], v[110:111]
	v_fma_f64 v[2:3], v[64:65], v[110:111], -v[2:3]
	v_accvgpr_write_b32 a12, v82
	v_accvgpr_write_b32 a52, v128
	v_accvgpr_write_b32 a24, v94
	v_accvgpr_write_b32 a36, v110
	ds_write_b128 v126, v[0:3] offset:25872
	s_waitcnt vmcnt(0)
	v_mul_f64 v[0:1], v[68:69], v[120:121]
	v_mul_f64 v[2:3], v[66:67], v[120:121]
	v_accvgpr_write_b32 a44, v118
	v_accvgpr_write_b32 a33, v103
	;; [unrolled: 1-line block ×37, first 2 shown]
	v_fmac_f64_e32 v[0:1], v[66:67], v[118:119]
	v_accvgpr_write_b32 a45, v119
	v_accvgpr_write_b32 a46, v120
	;; [unrolled: 1-line block ×3, first 2 shown]
	v_fma_f64 v[2:3], v[68:69], v[118:119], -v[2:3]
	ds_write_b128 v126, v[70:73]
	ds_write_b128 v126, v[4:7] offset:2352
	ds_write_b128 v126, v[0:3] offset:28224
	s_and_saveexec_b64 s[18:19], vcc
	s_cbranch_execz .LBB0_3
; %bb.2:
	v_mov_b32_e32 v0, 0xffff9770
	v_mad_u64_u32 v[4:5], s[2:3], s12, v0, v[20:21]
	s_mul_i32 s2, s13, 0xffff9770
	s_sub_i32 s2, s2, s12
	v_add_u32_e32 v5, s2, v5
	v_mov_b32_e32 v98, s15
	v_add_co_u32_e64 v16, s[2:3], s14, v4
	v_addc_co_u32_e64 v17, s[2:3], v5, v98, s[2:3]
	v_add_co_u32_e64 v20, s[2:3], s14, v16
	global_load_dwordx4 v[0:3], v[4:5], off
	v_addc_co_u32_e64 v21, s[2:3], v17, v98, s[2:3]
	global_load_dwordx4 v[4:7], v[16:17], off
	global_load_dwordx4 v[12:15], v[108:109], off offset:1456
	global_load_dwordx4 v[8:11], v[108:109], off offset:3808
	v_add_co_u32_e64 v34, s[2:3], s14, v20
	v_addc_co_u32_e64 v35, s[2:3], v21, v98, s[2:3]
	v_add_co_u32_e64 v46, s[2:3], s14, v34
	global_load_dwordx4 v[16:19], v[20:21], off
	v_addc_co_u32_e64 v47, s[2:3], v35, v98, s[2:3]
	global_load_dwordx4 v[20:23], v[34:35], off
	global_load_dwordx4 v[28:31], v[32:33], off offset:2064
	global_load_dwordx4 v[24:27], v[38:39], off offset:320
	v_add_co_u32_e64 v58, s[2:3], s14, v46
	v_addc_co_u32_e64 v59, s[2:3], v47, v98, s[2:3]
	global_load_dwordx4 v[32:35], v[46:47], off
	s_nop 0
	global_load_dwordx4 v[46:49], v[58:59], off
	global_load_dwordx4 v[50:53], v[38:39], off offset:2672
	global_load_dwordx4 v[54:57], v[40:41], off offset:928
	v_add_co_u32_e64 v38, s[2:3], s14, v58
	v_addc_co_u32_e64 v39, s[2:3], v59, v98, s[2:3]
	v_add_co_u32_e64 v70, s[2:3], s14, v38
	v_addc_co_u32_e64 v71, s[2:3], v39, v98, s[2:3]
	v_add_co_u32_e64 v74, s[2:3], s14, v70
	global_load_dwordx4 v[58:61], v[38:39], off
	v_addc_co_u32_e64 v75, s[2:3], v71, v98, s[2:3]
	v_add_co_u32_e64 v86, s[2:3], s14, v74
	global_load_dwordx4 v[62:65], v[70:71], off
	global_load_dwordx4 v[66:69], v[40:41], off offset:3280
                                        ; kill: killed $vgpr40 killed $vgpr41
	s_nop 0
	global_load_dwordx4 v[38:41], v[36:37], off offset:1536
	v_addc_co_u32_e64 v87, s[2:3], v75, v98, s[2:3]
	global_load_dwordx4 v[70:73], v[74:75], off
	s_nop 0
	global_load_dwordx4 v[74:77], v[86:87], off
	global_load_dwordx4 v[78:81], v[36:37], off offset:3888
	global_load_dwordx4 v[82:85], v[42:43], off offset:2144
	v_add_co_u32_e64 v36, s[2:3], s14, v86
	v_addc_co_u32_e64 v37, s[2:3], v87, v98, s[2:3]
	global_load_dwordx4 v[86:89], v[36:37], off
	v_add_co_u32_e64 v36, s[2:3], s14, v36
	v_addc_co_u32_e64 v37, s[2:3], v37, v98, s[2:3]
	global_load_dwordx4 v[90:93], v[36:37], off
	global_load_dwordx4 v[94:97], v[44:45], off offset:400
	s_nop 0
	global_load_dwordx4 v[42:45], v[44:45], off offset:2752
	v_add_co_u32_e64 v36, s[2:3], s14, v36
	v_addc_co_u32_e64 v37, s[2:3], v37, v98, s[2:3]
	s_movk_i32 s2, 0x7000
	global_load_dwordx4 v[98:101], v[36:37], off
	v_add_co_u32_e64 v36, s[2:3], s2, v108
	v_addc_co_u32_e64 v37, s[2:3], 0, v109, s[2:3]
	global_load_dwordx4 v[102:105], v[36:37], off offset:1008
	s_waitcnt vmcnt(23)
	v_mul_f64 v[110:111], v[2:3], v[14:15]
	v_fmac_f64_e32 v[110:111], v[0:1], v[12:13]
	v_mul_f64 v[0:1], v[0:1], v[14:15]
	v_fma_f64 v[112:113], v[2:3], v[12:13], -v[0:1]
	s_waitcnt vmcnt(22)
	v_mul_f64 v[0:1], v[6:7], v[10:11]
	v_mul_f64 v[2:3], v[4:5], v[10:11]
	v_fmac_f64_e32 v[0:1], v[4:5], v[8:9]
	v_fma_f64 v[2:3], v[6:7], v[8:9], -v[2:3]
	ds_write_b128 v126, v[0:3] offset:3808
	ds_write_b128 v126, v[110:113] offset:1456
	s_waitcnt vmcnt(19)
	v_mul_f64 v[0:1], v[18:19], v[30:31]
	v_mul_f64 v[2:3], v[16:17], v[30:31]
	v_fmac_f64_e32 v[0:1], v[16:17], v[28:29]
	v_fma_f64 v[2:3], v[18:19], v[28:29], -v[2:3]
	ds_write_b128 v126, v[0:3] offset:6160
	s_waitcnt vmcnt(18)
	v_mul_f64 v[0:1], v[22:23], v[26:27]
	v_mul_f64 v[2:3], v[20:21], v[26:27]
	v_fmac_f64_e32 v[0:1], v[20:21], v[24:25]
	v_fma_f64 v[2:3], v[22:23], v[24:25], -v[2:3]
	;; [unrolled: 6-line block ×11, first 2 shown]
	ds_write_b128 v126, v[0:3] offset:29680
.LBB0_3:
	s_or_b64 exec, exec, s[18:19]
	s_waitcnt lgkmcnt(0)
	s_barrier
	ds_read_b128 v[60:63], v126
	ds_read_b128 v[68:71], v126 offset:2352
	ds_read_b128 v[48:51], v126 offset:4704
	;; [unrolled: 1-line block ×12, first 2 shown]
	s_load_dwordx2 s[4:5], s[4:5], 0x8
                                        ; implicit-def: $vgpr0_vgpr1
                                        ; implicit-def: $vgpr4_vgpr5
                                        ; implicit-def: $vgpr8_vgpr9
                                        ; implicit-def: $vgpr12_vgpr13
                                        ; implicit-def: $vgpr16_vgpr17
                                        ; implicit-def: $vgpr20_vgpr21
                                        ; implicit-def: $vgpr72_vgpr73
                                        ; implicit-def: $vgpr76_vgpr77
                                        ; implicit-def: $vgpr80_vgpr81
                                        ; implicit-def: $vgpr84_vgpr85
                                        ; implicit-def: $vgpr88_vgpr89
                                        ; implicit-def: $vgpr92_vgpr93
                                        ; implicit-def: $vgpr96_vgpr97
	s_and_saveexec_b64 s[2:3], vcc
	s_cbranch_execz .LBB0_5
; %bb.4:
	ds_read_b128 v[0:3], v126 offset:1456
	ds_read_b128 v[4:7], v126 offset:3808
	;; [unrolled: 1-line block ×13, first 2 shown]
.LBB0_5:
	s_or_b64 exec, exec, s[2:3]
	s_waitcnt lgkmcnt(0)
	v_add_f64 v[100:101], v[60:61], v[68:69]
	v_add_f64 v[102:103], v[62:63], v[70:71]
	;; [unrolled: 1-line block ×19, first 2 shown]
	s_mov_b32 s38, 0x4267c47c
	s_mov_b32 s30, 0x42a4c3d2
	;; [unrolled: 1-line block ×6, first 2 shown]
	v_add_f64 v[102:103], v[102:103], v[46:47]
	v_add_f64 v[100:101], v[100:101], v[64:65]
	;; [unrolled: 1-line block ×3, first 2 shown]
	v_add_f64 v[70:71], v[70:71], -v[106:107]
	s_mov_b32 s39, 0xbfddbe06
	s_mov_b32 s12, 0xe00740e9
	;; [unrolled: 1-line block ×12, first 2 shown]
	v_add_f64 v[102:103], v[102:103], v[66:67]
	v_add_f64 v[100:101], v[100:101], v[104:105]
	;; [unrolled: 1-line block ×3, first 2 shown]
	v_add_f64 v[68:69], v[68:69], -v[104:105]
	v_mul_f64 v[104:105], v[70:71], s[38:39]
	s_mov_b32 s13, 0x3fec55a7
	v_mul_f64 v[118:119], v[70:71], s[30:31]
	s_mov_b32 s15, 0x3fe22d96
	;; [unrolled: 2-line block ×6, first 2 shown]
	v_add_f64 v[102:103], v[102:103], v[106:107]
	v_fma_f64 v[106:107], v[110:111], s[12:13], -v[104:105]
	v_mul_f64 v[114:115], v[68:69], s[38:39]
	v_fmac_f64_e32 v[104:105], s[12:13], v[110:111]
	v_fma_f64 v[120:121], v[110:111], s[14:15], -v[118:119]
	v_mul_f64 v[122:123], v[68:69], s[30:31]
	v_fmac_f64_e32 v[118:119], s[14:15], v[110:111]
	;; [unrolled: 3-line block ×6, first 2 shown]
	v_add_f64 v[106:107], v[60:61], v[106:107]
	v_fma_f64 v[116:117], s[12:13], v[112:113], v[114:115]
	v_add_f64 v[104:105], v[60:61], v[104:105]
	v_fma_f64 v[114:115], v[112:113], s[12:13], -v[114:115]
	v_add_f64 v[120:121], v[60:61], v[120:121]
	v_fma_f64 v[124:125], s[14:15], v[112:113], v[122:123]
	v_add_f64 v[118:119], v[60:61], v[118:119]
	v_fma_f64 v[122:123], v[112:113], s[14:15], -v[122:123]
	;; [unrolled: 4-line block ×6, first 2 shown]
	v_add_f64 v[70:71], v[50:51], v[66:67]
	v_add_f64 v[50:51], v[50:51], -v[66:67]
	v_add_f64 v[116:117], v[62:63], v[116:117]
	v_add_f64 v[114:115], v[62:63], v[114:115]
	;; [unrolled: 1-line block ×13, first 2 shown]
	v_add_f64 v[48:49], v[48:49], -v[64:65]
	v_mul_f64 v[64:65], v[50:51], s[30:31]
	v_fma_f64 v[66:67], v[68:69], s[14:15], -v[64:65]
	v_add_f64 v[66:67], v[66:67], v[106:107]
	v_mul_f64 v[106:107], v[48:49], s[30:31]
	v_fmac_f64_e32 v[64:65], s[14:15], v[68:69]
	v_fma_f64 v[110:111], s[14:15], v[70:71], v[106:107]
	v_add_f64 v[64:65], v[64:65], v[104:105]
	v_fma_f64 v[104:105], v[70:71], s[14:15], -v[106:107]
	v_mul_f64 v[106:107], v[50:51], s[28:29]
	v_add_f64 v[104:105], v[104:105], v[114:115]
	v_fma_f64 v[112:113], v[68:69], s[24:25], -v[106:107]
	v_mul_f64 v[114:115], v[48:49], s[28:29]
	v_fmac_f64_e32 v[106:107], s[24:25], v[68:69]
	v_add_f64 v[110:111], v[110:111], v[116:117]
	v_fma_f64 v[116:117], s[24:25], v[70:71], v[114:115]
	v_add_f64 v[106:107], v[106:107], v[118:119]
	v_fma_f64 v[114:115], v[70:71], s[24:25], -v[114:115]
	v_mul_f64 v[118:119], v[50:51], s[36:37]
	v_add_f64 v[112:113], v[112:113], v[120:121]
	v_add_f64 v[114:115], v[114:115], v[122:123]
	v_fma_f64 v[120:121], v[68:69], s[22:23], -v[118:119]
	v_mul_f64 v[122:123], v[48:49], s[36:37]
	v_fmac_f64_e32 v[118:119], s[22:23], v[68:69]
	s_mov_b32 s45, 0x3fe5384d
	s_mov_b32 s44, s34
	v_add_f64 v[116:117], v[116:117], v[124:125]
	v_fma_f64 v[124:125], s[22:23], v[70:71], v[122:123]
	v_add_f64 v[118:119], v[118:119], v[128:129]
	v_fma_f64 v[122:123], v[70:71], s[22:23], -v[122:123]
	v_mul_f64 v[128:129], v[50:51], s[44:45]
	v_add_f64 v[120:121], v[120:121], v[130:131]
	v_add_f64 v[122:123], v[122:123], v[132:133]
	v_fma_f64 v[130:131], v[68:69], s[20:21], -v[128:129]
	v_mul_f64 v[132:133], v[48:49], s[44:45]
	v_fmac_f64_e32 v[128:129], s[20:21], v[68:69]
	s_mov_b32 s41, 0x3fefc445
	s_mov_b32 s40, s26
	v_add_f64 v[124:125], v[124:125], v[134:135]
	v_fma_f64 v[134:135], s[20:21], v[70:71], v[132:133]
	v_add_f64 v[128:129], v[128:129], v[136:137]
	v_fma_f64 v[132:133], v[70:71], s[20:21], -v[132:133]
	v_mul_f64 v[136:137], v[50:51], s[40:41]
	s_mov_b32 s43, 0x3fddbe06
	s_mov_b32 s42, s38
	v_add_f64 v[130:131], v[130:131], v[138:139]
	v_add_f64 v[132:133], v[132:133], v[140:141]
	v_fma_f64 v[138:139], v[68:69], s[18:19], -v[136:137]
	v_mul_f64 v[140:141], v[48:49], s[40:41]
	v_mul_f64 v[48:49], v[48:49], s[42:43]
	v_add_f64 v[138:139], v[138:139], v[146:147]
	v_fmac_f64_e32 v[136:137], s[18:19], v[68:69]
	v_mul_f64 v[50:51], v[50:51], s[42:43]
	v_fma_f64 v[146:147], s[12:13], v[70:71], v[48:49]
	v_fma_f64 v[48:49], v[70:71], s[12:13], -v[48:49]
	v_add_f64 v[136:137], v[136:137], v[144:145]
	v_fma_f64 v[144:145], v[68:69], s[12:13], -v[50:51]
	v_fmac_f64_e32 v[50:51], s[12:13], v[68:69]
	v_add_f64 v[48:49], v[48:49], v[62:63]
	v_add_f64 v[62:63], v[42:43], v[46:47]
	v_add_f64 v[42:43], v[42:43], -v[46:47]
	v_add_f64 v[50:51], v[50:51], v[60:61]
	v_add_f64 v[60:61], v[40:41], v[44:45]
	v_add_f64 v[40:41], v[40:41], -v[44:45]
	v_mul_f64 v[44:45], v[42:43], s[26:27]
	v_fma_f64 v[46:47], v[60:61], s[18:19], -v[44:45]
	v_add_f64 v[46:47], v[46:47], v[66:67]
	v_mul_f64 v[66:67], v[40:41], s[26:27]
	v_fmac_f64_e32 v[44:45], s[18:19], v[60:61]
	v_fma_f64 v[68:69], s[18:19], v[62:63], v[66:67]
	v_add_f64 v[44:45], v[44:45], v[64:65]
	v_fma_f64 v[64:65], v[62:63], s[18:19], -v[66:67]
	v_mul_f64 v[66:67], v[42:43], s[36:37]
	v_add_f64 v[134:135], v[134:135], v[142:143]
	v_fma_f64 v[142:143], s[18:19], v[70:71], v[140:141]
	v_fma_f64 v[140:141], v[70:71], s[18:19], -v[140:141]
	v_fma_f64 v[70:71], v[60:61], s[22:23], -v[66:67]
	v_fmac_f64_e32 v[66:67], s[22:23], v[60:61]
	s_mov_b32 s47, 0x3fedeba7
	s_mov_b32 s46, s28
	v_add_f64 v[64:65], v[64:65], v[104:105]
	v_mul_f64 v[104:105], v[40:41], s[36:37]
	v_add_f64 v[66:67], v[66:67], v[106:107]
	v_mul_f64 v[106:107], v[42:43], s[46:47]
	v_add_f64 v[68:69], v[68:69], v[110:111]
	v_add_f64 v[70:71], v[70:71], v[112:113]
	v_fma_f64 v[110:111], s[22:23], v[62:63], v[104:105]
	v_fma_f64 v[104:105], v[62:63], s[22:23], -v[104:105]
	v_fma_f64 v[112:113], v[60:61], s[24:25], -v[106:107]
	v_fmac_f64_e32 v[106:107], s[24:25], v[60:61]
	v_add_f64 v[104:105], v[104:105], v[114:115]
	v_mul_f64 v[114:115], v[40:41], s[46:47]
	v_add_f64 v[106:107], v[106:107], v[118:119]
	v_mul_f64 v[118:119], v[42:43], s[42:43]
	v_add_f64 v[110:111], v[110:111], v[116:117]
	v_add_f64 v[112:113], v[112:113], v[120:121]
	v_fma_f64 v[116:117], s[24:25], v[62:63], v[114:115]
	v_fma_f64 v[114:115], v[62:63], s[24:25], -v[114:115]
	v_fma_f64 v[120:121], v[60:61], s[12:13], -v[118:119]
	v_fmac_f64_e32 v[118:119], s[12:13], v[60:61]
	;; [unrolled: 10-line block ×3, first 2 shown]
	v_mul_f64 v[42:43], v[42:43], s[34:35]
	v_add_f64 v[122:123], v[122:123], v[132:133]
	v_mul_f64 v[132:133], v[40:41], s[30:31]
	v_add_f64 v[128:129], v[128:129], v[136:137]
	v_fma_f64 v[136:137], v[60:61], s[20:21], -v[42:43]
	v_mul_f64 v[40:41], v[40:41], s[34:35]
	v_fmac_f64_e32 v[42:43], s[20:21], v[60:61]
	v_add_f64 v[130:131], v[130:131], v[138:139]
	v_fma_f64 v[138:139], s[20:21], v[62:63], v[40:41]
	v_add_f64 v[42:43], v[42:43], v[50:51]
	v_fma_f64 v[40:41], v[62:63], s[20:21], -v[40:41]
	v_add_f64 v[50:51], v[34:35], v[38:39]
	v_add_f64 v[34:35], v[34:35], -v[38:39]
	v_add_f64 v[40:41], v[40:41], v[48:49]
	v_add_f64 v[48:49], v[32:33], v[36:37]
	v_add_f64 v[32:33], v[32:33], -v[36:37]
	v_mul_f64 v[36:37], v[34:35], s[28:29]
	v_fma_f64 v[38:39], v[48:49], s[24:25], -v[36:37]
	v_add_f64 v[38:39], v[38:39], v[46:47]
	v_mul_f64 v[46:47], v[32:33], s[28:29]
	v_fmac_f64_e32 v[36:37], s[24:25], v[48:49]
	v_fma_f64 v[60:61], s[24:25], v[50:51], v[46:47]
	v_add_f64 v[36:37], v[36:37], v[44:45]
	v_fma_f64 v[44:45], v[50:51], s[24:25], -v[46:47]
	v_mul_f64 v[46:47], v[34:35], s[44:45]
	v_add_f64 v[124:125], v[124:125], v[134:135]
	v_fma_f64 v[134:135], s[14:15], v[62:63], v[132:133]
	v_fma_f64 v[132:133], v[62:63], s[14:15], -v[132:133]
	v_fma_f64 v[62:63], v[48:49], s[20:21], -v[46:47]
	v_fmac_f64_e32 v[46:47], s[20:21], v[48:49]
	v_add_f64 v[44:45], v[44:45], v[64:65]
	v_mul_f64 v[64:65], v[32:33], s[44:45]
	v_add_f64 v[46:47], v[46:47], v[66:67]
	v_mul_f64 v[66:67], v[34:35], s[42:43]
	v_add_f64 v[60:61], v[60:61], v[68:69]
	v_add_f64 v[62:63], v[62:63], v[70:71]
	v_fma_f64 v[68:69], s[20:21], v[50:51], v[64:65]
	v_fma_f64 v[64:65], v[50:51], s[20:21], -v[64:65]
	v_fma_f64 v[70:71], v[48:49], s[12:13], -v[66:67]
	v_fmac_f64_e32 v[66:67], s[12:13], v[48:49]
	v_add_f64 v[64:65], v[64:65], v[104:105]
	v_mul_f64 v[104:105], v[32:33], s[42:43]
	v_add_f64 v[66:67], v[66:67], v[106:107]
	v_mul_f64 v[106:107], v[34:35], s[26:27]
	v_add_f64 v[68:69], v[68:69], v[110:111]
	v_add_f64 v[70:71], v[70:71], v[112:113]
	v_fma_f64 v[110:111], s[12:13], v[50:51], v[104:105]
	v_fma_f64 v[104:105], v[50:51], s[12:13], -v[104:105]
	v_fma_f64 v[112:113], v[48:49], s[18:19], -v[106:107]
	v_fmac_f64_e32 v[106:107], s[18:19], v[48:49]
	s_mov_b32 s51, 0x3fcea1e5
	s_mov_b32 s50, s36
	v_add_f64 v[104:105], v[104:105], v[114:115]
	v_mul_f64 v[114:115], v[32:33], s[26:27]
	v_add_f64 v[106:107], v[106:107], v[118:119]
	v_mul_f64 v[118:119], v[34:35], s[50:51]
	s_mov_b32 s49, 0x3fea55e2
	s_mov_b32 s48, s30
	v_add_f64 v[110:111], v[110:111], v[116:117]
	v_add_f64 v[112:113], v[112:113], v[120:121]
	v_fma_f64 v[116:117], s[18:19], v[50:51], v[114:115]
	v_fma_f64 v[114:115], v[50:51], s[18:19], -v[114:115]
	v_fma_f64 v[120:121], v[48:49], s[22:23], -v[118:119]
	v_fmac_f64_e32 v[118:119], s[22:23], v[48:49]
	v_mul_f64 v[34:35], v[34:35], s[48:49]
	v_add_f64 v[114:115], v[114:115], v[122:123]
	v_mul_f64 v[122:123], v[32:33], s[50:51]
	v_add_f64 v[118:119], v[118:119], v[128:129]
	v_fma_f64 v[128:129], v[48:49], s[14:15], -v[34:35]
	v_mul_f64 v[32:33], v[32:33], s[48:49]
	v_fmac_f64_e32 v[34:35], s[14:15], v[48:49]
	v_add_f64 v[120:121], v[120:121], v[130:131]
	v_fma_f64 v[130:131], s[14:15], v[50:51], v[32:33]
	v_add_f64 v[34:35], v[34:35], v[42:43]
	v_fma_f64 v[32:33], v[50:51], s[14:15], -v[32:33]
	v_add_f64 v[42:43], v[26:27], v[30:31]
	v_add_f64 v[26:27], v[26:27], -v[30:31]
	v_add_f64 v[32:33], v[32:33], v[40:41]
	v_add_f64 v[40:41], v[24:25], v[28:29]
	v_add_f64 v[24:25], v[24:25], -v[28:29]
	v_mul_f64 v[28:29], v[26:27], s[34:35]
	v_fma_f64 v[30:31], v[40:41], s[20:21], -v[28:29]
	v_add_f64 v[30:31], v[30:31], v[38:39]
	v_mul_f64 v[38:39], v[24:25], s[34:35]
	v_fmac_f64_e32 v[28:29], s[20:21], v[40:41]
	v_fma_f64 v[48:49], s[20:21], v[42:43], v[38:39]
	v_add_f64 v[28:29], v[28:29], v[36:37]
	v_fma_f64 v[36:37], v[42:43], s[20:21], -v[38:39]
	v_mul_f64 v[38:39], v[26:27], s[40:41]
	v_add_f64 v[116:117], v[116:117], v[124:125]
	v_fma_f64 v[124:125], s[22:23], v[50:51], v[122:123]
	v_fma_f64 v[122:123], v[50:51], s[22:23], -v[122:123]
	v_add_f64 v[36:37], v[36:37], v[44:45]
	v_fma_f64 v[44:45], v[40:41], s[18:19], -v[38:39]
	v_mul_f64 v[50:51], v[24:25], s[40:41]
	v_fmac_f64_e32 v[38:39], s[18:19], v[40:41]
	v_add_f64 v[48:49], v[48:49], v[60:61]
	v_fma_f64 v[60:61], s[18:19], v[42:43], v[50:51]
	v_add_f64 v[38:39], v[38:39], v[46:47]
	v_fma_f64 v[46:47], v[42:43], s[18:19], -v[50:51]
	v_mul_f64 v[50:51], v[26:27], s[30:31]
	v_add_f64 v[44:45], v[44:45], v[62:63]
	v_add_f64 v[46:47], v[46:47], v[64:65]
	v_fma_f64 v[62:63], v[40:41], s[14:15], -v[50:51]
	v_mul_f64 v[64:65], v[24:25], s[30:31]
	v_fmac_f64_e32 v[50:51], s[14:15], v[40:41]
	v_add_f64 v[66:67], v[50:51], v[66:67]
	v_fma_f64 v[50:51], v[42:43], s[14:15], -v[64:65]
	v_add_f64 v[60:61], v[60:61], v[68:69]
	v_fma_f64 v[68:69], s[14:15], v[42:43], v[64:65]
	v_add_f64 v[64:65], v[50:51], v[104:105]
	v_mul_f64 v[50:51], v[26:27], s[50:51]
	v_add_f64 v[62:63], v[62:63], v[70:71]
	v_fma_f64 v[70:71], v[40:41], s[22:23], -v[50:51]
	v_mul_f64 v[104:105], v[24:25], s[50:51]
	v_fmac_f64_e32 v[50:51], s[22:23], v[40:41]
	v_add_f64 v[106:107], v[50:51], v[106:107]
	v_fma_f64 v[50:51], v[42:43], s[22:23], -v[104:105]
	v_add_f64 v[140:141], v[140:141], v[148:149]
	v_add_f64 v[68:69], v[68:69], v[110:111]
	v_fma_f64 v[110:111], s[22:23], v[42:43], v[104:105]
	v_add_f64 v[104:105], v[50:51], v[114:115]
	v_mul_f64 v[50:51], v[26:27], s[42:43]
	v_add_f64 v[144:145], v[144:145], v[152:153]
	v_add_f64 v[132:133], v[132:133], v[140:141]
	;; [unrolled: 1-line block ×3, first 2 shown]
	v_fma_f64 v[112:113], v[40:41], s[12:13], -v[50:51]
	v_mul_f64 v[114:115], v[24:25], s[42:43]
	v_fmac_f64_e32 v[50:51], s[12:13], v[40:41]
	v_add_f64 v[146:147], v[146:147], v[154:155]
	v_add_f64 v[136:137], v[136:137], v[144:145]
	v_add_f64 v[122:123], v[122:123], v[132:133]
	v_add_f64 v[118:119], v[50:51], v[118:119]
	v_fma_f64 v[50:51], v[42:43], s[12:13], -v[114:115]
	v_mul_f64 v[26:27], v[26:27], s[28:29]
	v_add_f64 v[142:143], v[142:143], v[150:151]
	v_add_f64 v[138:139], v[138:139], v[146:147]
	;; [unrolled: 1-line block ×4, first 2 shown]
	v_fma_f64 v[116:117], s[12:13], v[42:43], v[114:115]
	v_add_f64 v[114:115], v[50:51], v[122:123]
	v_fma_f64 v[50:51], v[40:41], s[24:25], -v[26:27]
	v_mul_f64 v[24:25], v[24:25], s[28:29]
	v_add_f64 v[134:135], v[134:135], v[142:143]
	v_add_f64 v[130:131], v[130:131], v[138:139]
	;; [unrolled: 1-line block ×4, first 2 shown]
	v_fma_f64 v[50:51], s[24:25], v[42:43], v[24:25]
	v_fma_f64 v[24:25], v[42:43], s[24:25], -v[24:25]
	v_add_f64 v[136:137], v[54:55], -v[58:59]
	v_add_f64 v[124:125], v[124:125], v[134:135]
	v_add_f64 v[122:123], v[50:51], v[130:131]
	v_fmac_f64_e32 v[26:27], s[24:25], v[40:41]
	v_add_f64 v[128:129], v[24:25], v[32:33]
	v_add_f64 v[130:131], v[52:53], v[56:57]
	v_mul_f64 v[24:25], v[136:137], s[36:37]
	v_add_f64 v[116:117], v[116:117], v[124:125]
	v_add_f64 v[124:125], v[26:27], v[34:35]
	v_add_f64 v[134:135], v[52:53], -v[56:57]
	v_fma_f64 v[26:27], v[130:131], s[22:23], -v[24:25]
	v_add_f64 v[132:133], v[54:55], v[58:59]
	v_add_f64 v[32:33], v[26:27], v[30:31]
	v_mul_f64 v[26:27], v[134:135], s[36:37]
	v_fmac_f64_e32 v[24:25], s[22:23], v[130:131]
	v_fma_f64 v[30:31], s[22:23], v[132:133], v[26:27]
	v_add_f64 v[24:25], v[24:25], v[28:29]
	v_mul_f64 v[28:29], v[136:137], s[42:43]
	v_add_f64 v[34:35], v[30:31], v[48:49]
	v_fma_f64 v[30:31], v[130:131], s[12:13], -v[28:29]
	v_fma_f64 v[26:27], v[132:133], s[22:23], -v[26:27]
	v_add_f64 v[40:41], v[30:31], v[44:45]
	v_mul_f64 v[30:31], v[134:135], s[42:43]
	v_add_f64 v[26:27], v[26:27], v[36:37]
	v_fma_f64 v[36:37], s[12:13], v[132:133], v[30:31]
	v_add_f64 v[42:43], v[36:37], v[60:61]
	v_fmac_f64_e32 v[28:29], s[12:13], v[130:131]
	v_mul_f64 v[36:37], v[136:137], s[34:35]
	v_add_f64 v[28:29], v[28:29], v[38:39]
	v_fma_f64 v[38:39], v[130:131], s[20:21], -v[36:37]
	v_add_f64 v[48:49], v[38:39], v[62:63]
	v_mul_f64 v[38:39], v[134:135], s[34:35]
	v_fma_f64 v[44:45], s[20:21], v[132:133], v[38:39]
	v_mul_f64 v[56:57], v[136:137], s[28:29]
	v_fma_f64 v[30:31], v[132:133], s[12:13], -v[30:31]
	v_add_f64 v[50:51], v[44:45], v[68:69]
	v_mul_f64 v[44:45], v[136:137], s[48:49]
	v_fma_f64 v[58:59], v[130:131], s[24:25], -v[56:57]
	v_fmac_f64_e32 v[56:57], s[24:25], v[130:131]
	v_add_f64 v[222:223], v[6:7], -v[98:99]
	v_add_f64 v[30:31], v[30:31], v[46:47]
	v_fma_f64 v[46:47], v[130:131], s[14:15], -v[44:45]
	v_add_f64 v[56:57], v[56:57], v[118:119]
	v_mul_f64 v[118:119], v[222:223], s[28:29]
	v_fma_f64 v[38:39], v[132:133], s[20:21], -v[38:39]
	v_add_f64 v[52:53], v[46:47], v[70:71]
	v_mul_f64 v[46:47], v[134:135], s[48:49]
	v_mul_f64 v[68:69], v[136:137], s[40:41]
	v_add_f64 v[206:207], v[4:5], v[96:97]
	v_add_f64 v[212:213], v[4:5], -v[96:97]
	v_accvgpr_write_b32 a100, v118
	v_add_f64 v[38:39], v[38:39], v[64:65]
	v_fma_f64 v[54:55], s[14:15], v[132:133], v[46:47]
	v_fma_f64 v[46:47], v[132:133], s[14:15], -v[46:47]
	v_fma_f64 v[64:65], v[130:131], s[18:19], -v[68:69]
	v_add_f64 v[208:209], v[6:7], v[98:99]
	v_mul_f64 v[158:159], v[212:213], s[28:29]
	v_accvgpr_write_b32 a101, v119
	v_fma_f64 v[118:119], s[24:25], v[206:207], v[118:119]
	v_fmac_f64_e32 v[44:45], s[14:15], v[130:131]
	v_add_f64 v[46:47], v[46:47], v[104:105]
	v_add_f64 v[64:65], v[64:65], v[120:121]
	v_fmac_f64_e32 v[68:69], s[18:19], v[130:131]
	v_mul_f64 v[104:105], v[222:223], s[38:39]
	v_add_f64 v[120:121], v[0:1], v[118:119]
	v_fma_f64 v[118:119], v[208:209], s[24:25], -v[158:159]
	v_add_f64 v[234:235], v[10:11], -v[94:95]
	v_fmac_f64_e32 v[36:37], s[20:21], v[130:131]
	v_add_f64 v[44:45], v[44:45], v[106:107]
	v_mul_f64 v[70:71], v[134:135], s[40:41]
	v_add_f64 v[68:69], v[68:69], v[124:125]
	v_mul_f64 v[106:107], v[212:213], s[38:39]
	v_accvgpr_write_b32 a76, v104
	v_add_f64 v[124:125], v[2:3], v[118:119]
	v_mul_f64 v[118:119], v[234:235], s[30:31]
	v_add_f64 v[36:37], v[36:37], v[66:67]
	v_fma_f64 v[66:67], s[18:19], v[132:133], v[70:71]
	v_accvgpr_write_b32 a77, v105
	v_fma_f64 v[104:105], s[12:13], v[206:207], v[104:105]
	v_accvgpr_write_b32 a78, v106
	v_add_f64 v[192:193], v[8:9], v[92:93]
	v_add_f64 v[224:225], v[8:9], -v[92:93]
	v_accvgpr_write_b32 a82, v118
	v_add_f64 v[66:67], v[66:67], v[122:123]
	v_add_f64 v[104:105], v[0:1], v[104:105]
	v_accvgpr_write_b32 a79, v107
	v_fma_f64 v[106:107], v[208:209], s[12:13], -v[106:107]
	v_add_f64 v[198:199], v[10:11], v[94:95]
	v_mul_f64 v[122:123], v[224:225], s[30:31]
	v_accvgpr_write_b32 a83, v119
	v_fma_f64 v[118:119], s[14:15], v[192:193], v[118:119]
	v_add_f64 v[54:55], v[54:55], v[110:111]
	v_add_f64 v[106:107], v[2:3], v[106:107]
	v_mul_f64 v[110:111], v[222:223], s[30:31]
	v_add_f64 v[104:105], v[118:119], v[104:105]
	v_fma_f64 v[118:119], v[198:199], s[14:15], -v[122:123]
	v_add_f64 v[60:61], v[58:59], v[112:113]
	v_mul_f64 v[112:113], v[212:213], s[30:31]
	v_accvgpr_write_b32 a80, v110
	v_add_f64 v[106:107], v[118:119], v[106:107]
	v_mul_f64 v[118:119], v[234:235], s[28:29]
	v_mul_f64 v[58:59], v[134:135], s[28:29]
	v_accvgpr_write_b32 a81, v111
	v_fma_f64 v[110:111], s[14:15], v[206:207], v[110:111]
	v_accvgpr_write_b32 a84, v112
	v_accvgpr_write_b32 a86, v122
	;; [unrolled: 1-line block ×3, first 2 shown]
	v_fma_f64 v[62:63], s[24:25], v[132:133], v[58:59]
	v_fma_f64 v[58:59], v[132:133], s[24:25], -v[58:59]
	v_add_f64 v[110:111], v[0:1], v[110:111]
	v_accvgpr_write_b32 a85, v113
	v_fma_f64 v[112:113], v[208:209], s[14:15], -v[112:113]
	v_accvgpr_write_b32 a87, v123
	v_mul_f64 v[122:123], v[224:225], s[28:29]
	v_accvgpr_write_b32 a91, v119
	v_fma_f64 v[118:119], s[24:25], v[192:193], v[118:119]
	v_add_f64 v[58:59], v[58:59], v[114:115]
	v_add_f64 v[112:113], v[2:3], v[112:113]
	v_mul_f64 v[114:115], v[222:223], s[26:27]
	v_add_f64 v[118:119], v[118:119], v[110:111]
	v_fma_f64 v[110:111], v[198:199], s[24:25], -v[122:123]
	v_add_f64 v[62:63], v[62:63], v[116:117]
	v_mul_f64 v[116:117], v[212:213], s[26:27]
	v_accvgpr_write_b32 a88, v114
	v_add_f64 v[112:113], v[110:111], v[112:113]
	v_mul_f64 v[110:111], v[234:235], s[36:37]
	v_accvgpr_write_b32 a89, v115
	v_fma_f64 v[114:115], s[18:19], v[206:207], v[114:115]
	v_accvgpr_write_b32 a94, v116
	v_accvgpr_write_b32 a102, v110
	v_add_f64 v[114:115], v[0:1], v[114:115]
	v_accvgpr_write_b32 a95, v117
	v_fma_f64 v[116:117], v[208:209], s[18:19], -v[116:117]
	v_mul_f64 v[140:141], v[224:225], s[36:37]
	v_accvgpr_write_b32 a103, v111
	v_fma_f64 v[110:111], s[22:23], v[192:193], v[110:111]
	v_add_f64 v[116:117], v[2:3], v[116:117]
	v_add_f64 v[114:115], v[110:111], v[114:115]
	v_fma_f64 v[110:111], v[198:199], s[22:23], -v[140:141]
	v_accvgpr_write_b32 a96, v122
	v_add_f64 v[116:117], v[110:111], v[116:117]
	v_add_f64 v[110:111], v[14:15], -v[90:91]
	v_accvgpr_write_b32 a97, v123
	v_mul_f64 v[122:123], v[110:111], s[26:27]
	v_fma_f64 v[70:71], v[132:133], s[18:19], -v[70:71]
	v_add_f64 v[186:187], v[12:13], v[88:89]
	v_add_f64 v[236:237], v[12:13], -v[88:89]
	v_accvgpr_write_b32 a92, v122
	v_add_f64 v[70:71], v[70:71], v[128:129]
	v_add_f64 v[188:189], v[14:15], v[90:91]
	v_mul_f64 v[128:129], v[236:237], s[26:27]
	v_accvgpr_write_b32 a93, v123
	v_fma_f64 v[122:123], s[18:19], v[186:187], v[122:123]
	v_add_f64 v[104:105], v[122:123], v[104:105]
	v_fma_f64 v[122:123], v[188:189], s[18:19], -v[128:129]
	v_mul_f64 v[136:137], v[110:111], s[36:37]
	v_add_f64 v[106:107], v[122:123], v[106:107]
	v_mul_f64 v[142:143], v[236:237], s[36:37]
	v_fma_f64 v[122:123], s[22:23], v[186:187], v[136:137]
	v_add_f64 v[118:119], v[122:123], v[118:119]
	v_fma_f64 v[122:123], v[188:189], s[22:23], -v[142:143]
	v_mul_f64 v[146:147], v[110:111], s[46:47]
	v_add_f64 v[112:113], v[122:123], v[112:113]
	v_mul_f64 v[154:155], v[236:237], s[46:47]
	v_fma_f64 v[122:123], s[24:25], v[186:187], v[146:147]
	v_add_f64 v[246:247], v[18:19], -v[86:87]
	v_add_f64 v[114:115], v[122:123], v[114:115]
	v_fma_f64 v[122:123], v[188:189], s[24:25], -v[154:155]
	v_add_f64 v[184:185], v[16:17], v[84:85]
	v_add_f64 v[240:241], v[16:17], -v[84:85]
	v_mul_f64 v[138:139], v[246:247], s[28:29]
	v_add_f64 v[116:117], v[122:123], v[116:117]
	v_add_f64 v[190:191], v[18:19], v[86:87]
	v_mul_f64 v[144:145], v[240:241], s[28:29]
	v_fma_f64 v[122:123], s[24:25], v[184:185], v[138:139]
	v_add_f64 v[104:105], v[122:123], v[104:105]
	v_fma_f64 v[122:123], v[190:191], s[24:25], -v[144:145]
	v_mul_f64 v[148:149], v[246:247], s[44:45]
	v_add_f64 v[106:107], v[122:123], v[106:107]
	v_mul_f64 v[156:157], v[240:241], s[44:45]
	v_fma_f64 v[122:123], s[20:21], v[184:185], v[148:149]
	v_add_f64 v[118:119], v[122:123], v[118:119]
	v_fma_f64 v[122:123], v[190:191], s[20:21], -v[156:157]
	v_mul_f64 v[162:163], v[246:247], s[42:43]
	v_add_f64 v[122:123], v[122:123], v[112:113]
	v_mul_f64 v[168:169], v[240:241], s[42:43]
	v_fma_f64 v[112:113], s[12:13], v[184:185], v[162:163]
	v_add_f64 v[114:115], v[112:113], v[114:115]
	v_fma_f64 v[112:113], v[190:191], s[12:13], -v[168:169]
	v_add_f64 v[116:117], v[112:113], v[116:117]
	v_add_f64 v[112:113], v[22:23], -v[82:83]
	v_add_f64 v[194:195], v[20:21], v[80:81]
	v_add_f64 v[252:253], v[20:21], -v[80:81]
	v_mul_f64 v[150:151], v[112:113], s[34:35]
	v_add_f64 v[200:201], v[22:23], v[82:83]
	v_mul_f64 v[160:161], v[252:253], s[34:35]
	v_fma_f64 v[164:165], s[20:21], v[194:195], v[150:151]
	v_add_f64 v[104:105], v[164:165], v[104:105]
	v_fma_f64 v[164:165], v[200:201], s[20:21], -v[160:161]
	v_add_f64 v[106:107], v[164:165], v[106:107]
	v_mul_f64 v[164:165], v[112:113], s[40:41]
	v_mul_f64 v[170:171], v[252:253], s[40:41]
	v_fma_f64 v[166:167], s[18:19], v[194:195], v[164:165]
	v_add_f64 v[182:183], v[166:167], v[118:119]
	v_fma_f64 v[118:119], v[200:201], s[18:19], -v[170:171]
	v_mul_f64 v[174:175], v[112:113], s[30:31]
	v_add_f64 v[196:197], v[118:119], v[122:123]
	v_mul_f64 v[178:179], v[252:253], s[30:31]
	v_fma_f64 v[118:119], s[14:15], v[194:195], v[174:175]
	v_add_f64 v[114:115], v[118:119], v[114:115]
	v_fma_f64 v[118:119], v[200:201], s[14:15], -v[178:179]
	v_add_f64 v[122:123], v[74:75], -v[78:79]
	v_add_f64 v[116:117], v[118:119], v[116:117]
	v_add_f64 v[202:203], v[72:73], v[76:77]
	v_add_f64 v[118:119], v[72:73], -v[76:77]
	v_mul_f64 v[166:167], v[122:123], s[36:37]
	v_accvgpr_write_b32 a98, v128
	v_add_f64 v[204:205], v[74:75], v[78:79]
	v_mul_f64 v[172:173], v[118:119], s[36:37]
	v_fma_f64 v[176:177], s[22:23], v[202:203], v[166:167]
	v_accvgpr_write_b32 a99, v129
	v_add_f64 v[128:129], v[176:177], v[104:105]
	v_fma_f64 v[104:105], v[204:205], s[22:23], -v[172:173]
	v_mul_f64 v[176:177], v[122:123], s[42:43]
	v_add_f64 v[130:131], v[104:105], v[106:107]
	v_accvgpr_write_b32 a64, v128
	v_mul_f64 v[180:181], v[118:119], s[42:43]
	v_fma_f64 v[104:105], s[12:13], v[202:203], v[176:177]
	v_accvgpr_write_b32 a65, v129
	v_accvgpr_write_b32 a66, v130
	;; [unrolled: 1-line block ×3, first 2 shown]
	v_add_f64 v[128:129], v[104:105], v[182:183]
	v_fma_f64 v[104:105], v[204:205], s[12:13], -v[180:181]
	v_mul_f64 v[182:183], v[122:123], s[34:35]
	v_add_f64 v[130:131], v[104:105], v[196:197]
	v_mul_f64 v[196:197], v[118:119], s[34:35]
	v_fma_f64 v[104:105], s[20:21], v[202:203], v[182:183]
	v_mul_f64 v[152:153], v[234:235], s[44:45]
	v_add_f64 v[114:115], v[104:105], v[114:115]
	v_fma_f64 v[104:105], v[204:205], s[20:21], -v[196:197]
	v_add_f64 v[116:117], v[104:105], v[116:117]
	v_accvgpr_write_b32 a56, v114
	v_mul_f64 v[220:221], v[224:225], s[44:45]
	v_fma_f64 v[104:105], s[20:21], v[192:193], v[152:153]
	v_mul_f64 v[210:211], v[110:111], s[42:43]
	v_accvgpr_write_b32 a57, v115
	v_accvgpr_write_b32 a58, v116
	;; [unrolled: 1-line block ×3, first 2 shown]
	v_add_f64 v[104:105], v[104:105], v[120:121]
	v_fma_f64 v[106:107], v[198:199], s[20:21], -v[220:221]
	v_fma_f64 v[114:115], s[12:13], v[186:187], v[210:211]
	v_mul_f64 v[226:227], v[236:237], s[42:43]
	v_add_f64 v[106:107], v[106:107], v[124:125]
	v_add_f64 v[104:105], v[114:115], v[104:105]
	v_fma_f64 v[114:115], v[188:189], s[12:13], -v[226:227]
	v_mul_f64 v[214:215], v[246:247], s[26:27]
	v_add_f64 v[106:107], v[114:115], v[106:107]
	v_fma_f64 v[114:115], s[18:19], v[184:185], v[214:215]
	v_mul_f64 v[228:229], v[240:241], s[26:27]
	v_add_f64 v[104:105], v[114:115], v[104:105]
	v_fma_f64 v[114:115], v[190:191], s[18:19], -v[228:229]
	v_mul_f64 v[216:217], v[112:113], s[50:51]
	v_add_f64 v[106:107], v[114:115], v[106:107]
	v_fma_f64 v[114:115], s[22:23], v[194:195], v[216:217]
	v_mul_f64 v[230:231], v[252:253], s[50:51]
	;; [unrolled: 6-line block ×4, first 2 shown]
	v_accvgpr_write_b32 a68, v114
	v_add_f64 v[104:105], v[0:1], v[104:105]
	v_fma_f64 v[106:107], s[18:19], v[192:193], v[242:243]
	v_accvgpr_write_b32 a69, v115
	v_accvgpr_write_b32 a70, v116
	;; [unrolled: 1-line block ×3, first 2 shown]
	v_add_f64 v[114:115], v[106:107], v[104:105]
	v_mul_f64 v[104:105], v[212:213], s[34:35]
	v_fma_f64 v[106:107], v[208:209], s[20:21], -v[104:105]
	v_add_f64 v[116:117], v[2:3], v[106:107]
	v_mul_f64 v[106:107], v[224:225], s[40:41]
	v_fma_f64 v[120:121], v[198:199], s[18:19], -v[106:107]
	v_mul_f64 v[244:245], v[110:111], s[30:31]
	v_add_f64 v[116:117], v[120:121], v[116:117]
	v_fma_f64 v[120:121], s[14:15], v[186:187], v[244:245]
	v_add_f64 v[120:121], v[120:121], v[114:115]
	v_mul_f64 v[114:115], v[236:237], s[30:31]
	v_fma_f64 v[124:125], v[188:189], s[14:15], -v[114:115]
	v_mul_f64 v[248:249], v[246:247], s[50:51]
	v_add_f64 v[124:125], v[124:125], v[116:117]
	v_fma_f64 v[116:117], s[22:23], v[184:185], v[248:249]
	v_add_f64 v[120:121], v[116:117], v[120:121]
	v_mul_f64 v[116:117], v[240:241], s[50:51]
	v_fma_f64 v[250:251], v[190:191], s[22:23], -v[116:117]
	v_add_f64 v[124:125], v[250:251], v[124:125]
	v_mul_f64 v[250:251], v[112:113], s[42:43]
	v_accvgpr_write_b32 a60, v128
	v_fma_f64 v[254:255], s[12:13], v[194:195], v[250:251]
	v_accvgpr_write_b32 a61, v129
	v_accvgpr_write_b32 a62, v130
	;; [unrolled: 1-line block ×3, first 2 shown]
	v_add_f64 v[128:129], v[254:255], v[120:121]
	v_mul_f64 v[120:121], v[252:253], s[42:43]
	v_fma_f64 v[254:255], v[200:201], s[12:13], -v[120:121]
	v_add_f64 v[130:131], v[254:255], v[124:125]
	v_mul_f64 v[254:255], v[122:123], s[28:29]
	v_fma_f64 v[124:125], s[24:25], v[202:203], v[254:255]
	v_add_f64 v[132:133], v[124:125], v[128:129]
	v_mul_f64 v[124:125], v[118:119], s[28:29]
	v_fma_f64 v[128:129], v[204:205], s[24:25], -v[124:125]
	v_add_f64 v[134:135], v[128:129], v[130:131]
	v_accvgpr_read_b32 v128, a0
	v_mul_lo_u16_e32 v127, 13, v128
	v_lshlrev_b32_e32 v127, 4, v127
	s_movk_i32 s16, 0x5b
	s_barrier
	ds_write_b128 v127, v[100:103]
	ds_write_b128 v127, v[32:35] offset:16
	ds_write_b128 v127, v[40:43] offset:32
	;; [unrolled: 1-line block ×10, first 2 shown]
	v_add_co_u32_e64 v36, s[2:3], s16, v128
	v_accvgpr_write_b32 a72, v132
	ds_write_b128 v127, v[28:31] offset:176
	ds_write_b128 v127, v[24:27] offset:192
	v_mul_u32_u24_e32 v24, 13, v36
	v_accvgpr_write_b32 a73, v133
	v_accvgpr_write_b32 a74, v134
	;; [unrolled: 1-line block ×4, first 2 shown]
	s_and_saveexec_b64 s[2:3], vcc
	s_cbranch_execz .LBB0_7
; %bb.6:
	v_mul_f64 v[40:41], v[208:209], s[22:23]
	v_mul_f64 v[30:31], v[198:199], s[12:13]
	v_fma_f64 v[26:27], s[50:51], v[212:213], v[40:41]
	v_mul_f64 v[28:29], v[188:189], s[20:21]
	v_fma_f64 v[24:25], s[38:39], v[224:225], v[30:31]
	v_add_f64 v[26:27], v[2:3], v[26:27]
	v_add_f64 v[24:25], v[24:25], v[26:27]
	v_fma_f64 v[26:27], s[44:45], v[236:237], v[28:29]
	v_mul_f64 v[44:45], v[190:191], s[14:15]
	v_add_f64 v[24:25], v[26:27], v[24:25]
	v_fma_f64 v[26:27], s[30:31], v[240:241], v[44:45]
	v_mul_f64 v[46:47], v[200:201], s[24:25]
	;; [unrolled: 3-line block ×3, first 2 shown]
	v_fmac_f64_e32 v[40:41], s[36:37], v[212:213]
	v_add_f64 v[24:25], v[26:27], v[24:25]
	v_mul_f64 v[48:49], v[234:235], s[42:43]
	v_fma_f64 v[26:27], s[22:23], v[206:207], v[50:51]
	v_fmac_f64_e32 v[30:31], s[42:43], v[224:225]
	v_add_f64 v[40:41], v[2:3], v[40:41]
	v_add_f64 v[26:27], v[0:1], v[26:27]
	v_fma_f64 v[32:33], s[12:13], v[192:193], v[48:49]
	v_mul_f64 v[52:53], v[110:111], s[34:35]
	v_fmac_f64_e32 v[28:29], s[34:35], v[236:237]
	v_add_f64 v[30:31], v[30:31], v[40:41]
	v_fma_f64 v[40:41], v[206:207], s[22:23], -v[50:51]
	v_add_f64 v[26:27], v[32:33], v[26:27]
	v_fma_f64 v[32:33], s[20:21], v[186:187], v[52:53]
	v_mul_f64 v[54:55], v[246:247], s[48:49]
	v_fmac_f64_e32 v[44:45], s[48:49], v[240:241]
	v_add_f64 v[28:29], v[28:29], v[30:31]
	v_fma_f64 v[30:31], v[192:193], s[12:13], -v[48:49]
	v_add_f64 v[40:41], v[0:1], v[40:41]
	v_add_f64 v[26:27], v[32:33], v[26:27]
	v_fma_f64 v[32:33], s[14:15], v[184:185], v[54:55]
	v_mul_f64 v[56:57], v[112:113], s[28:29]
	v_fmac_f64_e32 v[46:47], s[28:29], v[252:253]
	v_add_f64 v[28:29], v[44:45], v[28:29]
	v_add_f64 v[30:31], v[30:31], v[40:41]
	v_fma_f64 v[40:41], v[186:187], s[20:21], -v[52:53]
	v_add_f64 v[26:27], v[32:33], v[26:27]
	v_fma_f64 v[32:33], s[24:25], v[194:195], v[56:57]
	v_mul_f64 v[58:59], v[204:205], s[18:19]
	v_add_f64 v[28:29], v[46:47], v[28:29]
	v_mul_f64 v[46:47], v[208:209], s[20:21]
	v_add_f64 v[30:31], v[40:41], v[30:31]
	v_fma_f64 v[50:51], v[184:185], s[14:15], -v[54:55]
	v_add_f64 v[32:33], v[32:33], v[26:27]
	v_fma_f64 v[26:27], s[26:27], v[118:119], v[58:59]
	v_mul_f64 v[60:61], v[122:123], s[40:41]
	v_fmac_f64_e32 v[58:59], s[40:41], v[118:119]
	v_mul_f64 v[44:45], v[206:207], s[20:21]
	v_add_f64 v[30:31], v[50:51], v[30:31]
	v_fma_f64 v[50:51], v[194:195], s[24:25], -v[56:57]
	v_mul_f64 v[70:71], v[198:199], s[18:19]
	v_add_f64 v[46:47], v[104:105], v[46:47]
	v_add_f64 v[26:27], v[26:27], v[24:25]
	v_fma_f64 v[24:25], s[18:19], v[202:203], v[60:61]
	v_add_f64 v[50:51], v[50:51], v[30:31]
	v_add_f64 v[30:31], v[58:59], v[28:29]
	v_fma_f64 v[28:29], v[202:203], s[18:19], -v[60:61]
	v_mul_f64 v[60:61], v[188:189], s[14:15]
	v_add_f64 v[70:71], v[106:107], v[70:71]
	v_add_f64 v[46:47], v[2:3], v[46:47]
	v_mul_f64 v[106:107], v[192:193], s[18:19]
	v_add_f64 v[44:45], v[44:45], -v[238:239]
	v_mul_f64 v[54:55], v[190:191], s[22:23]
	v_add_f64 v[60:61], v[114:115], v[60:61]
	v_add_f64 v[46:47], v[70:71], v[46:47]
	v_mul_f64 v[114:115], v[186:187], s[14:15]
	v_add_f64 v[106:107], v[106:107], -v[242:243]
	v_add_f64 v[44:45], v[0:1], v[44:45]
	v_mul_f64 v[48:49], v[208:209], s[24:25]
	v_mul_f64 v[52:53], v[200:201], s[12:13]
	v_add_f64 v[54:55], v[116:117], v[54:55]
	v_add_f64 v[46:47], v[60:61], v[46:47]
	v_mul_f64 v[112:113], v[184:185], s[22:23]
	v_add_f64 v[114:115], v[114:115], -v[244:245]
	v_add_f64 v[44:45], v[106:107], v[44:45]
	v_add_f64 v[28:29], v[28:29], v[50:51]
	v_mul_f64 v[50:51], v[204:205], s[24:25]
	v_add_f64 v[52:53], v[120:121], v[52:53]
	v_mul_f64 v[104:105], v[198:199], s[20:21]
	;; [unrolled: 2-line block ×3, first 2 shown]
	v_add_f64 v[112:113], v[112:113], -v[248:249]
	v_add_f64 v[44:45], v[114:115], v[44:45]
	v_add_f64 v[48:49], v[158:159], v[48:49]
	;; [unrolled: 1-line block ×4, first 2 shown]
	v_mul_f64 v[52:53], v[202:203], s[24:25]
	v_add_f64 v[54:55], v[54:55], -v[250:251]
	v_mul_f64 v[124:125], v[188:189], s[12:13]
	v_add_f64 v[44:45], v[112:113], v[44:45]
	v_add_f64 v[104:105], v[220:221], v[104:105]
	;; [unrolled: 1-line block ×3, first 2 shown]
	v_add_f64 v[52:53], v[52:53], -v[254:255]
	v_add_f64 v[44:45], v[54:55], v[44:45]
	v_mul_f64 v[54:55], v[190:191], s[18:19]
	v_add_f64 v[124:125], v[226:227], v[124:125]
	v_add_f64 v[48:49], v[104:105], v[48:49]
	v_add_f64 v[44:45], v[52:53], v[44:45]
	v_mul_f64 v[52:53], v[200:201], s[22:23]
	v_add_f64 v[54:55], v[228:229], v[54:55]
	v_add_f64 v[48:49], v[124:125], v[48:49]
	;; [unrolled: 4-line block ×3, first 2 shown]
	v_mul_f64 v[122:123], v[186:187], s[12:13]
	v_add_f64 v[50:51], v[232:233], v[50:51]
	v_add_f64 v[48:49], v[52:53], v[48:49]
	;; [unrolled: 1-line block ×3, first 2 shown]
	v_add_f64 v[48:49], v[122:123], -v[210:211]
	v_accvgpr_read_b32 v123, a101
	v_mul_f64 v[66:67], v[206:207], s[24:25]
	v_accvgpr_read_b32 v122, a100
	v_mul_f64 v[70:71], v[192:193], s[20:21]
	v_add_f64 v[66:67], v[66:67], -v[122:123]
	v_mul_f64 v[106:107], v[188:189], s[24:25]
	v_add_f64 v[70:71], v[70:71], -v[152:153]
	v_add_f64 v[66:67], v[0:1], v[66:67]
	v_add_f64 v[66:67], v[70:71], v[66:67]
	;; [unrolled: 1-line block ×3, first 2 shown]
	v_accvgpr_read_b32 v107, a95
	v_mul_f64 v[64:65], v[208:209], s[18:19]
	v_accvgpr_read_b32 v106, a94
	v_mul_f64 v[102:103], v[198:199], s[22:23]
	v_add_f64 v[64:65], v[106:107], v[64:65]
	v_add_f64 v[102:103], v[140:141], v[102:103]
	;; [unrolled: 1-line block ×4, first 2 shown]
	v_accvgpr_read_b32 v102, a102
	v_mul_f64 v[100:101], v[192:193], s[22:23]
	v_accvgpr_read_b32 v103, a103
	v_add_f64 v[100:101], v[100:101], -v[102:103]
	v_accvgpr_read_b32 v103, a89
	v_mul_f64 v[62:63], v[206:207], s[18:19]
	v_accvgpr_read_b32 v102, a88
	v_add_f64 v[62:63], v[62:63], -v[102:103]
	v_add_f64 v[62:63], v[0:1], v[62:63]
	v_add_f64 v[62:63], v[100:101], v[62:63]
	v_accvgpr_read_b32 v101, a97
	v_mul_f64 v[58:59], v[198:199], s[24:25]
	v_accvgpr_read_b32 v100, a96
	v_add_f64 v[58:59], v[100:101], v[58:59]
	v_accvgpr_read_b32 v101, a85
	v_mul_f64 v[42:43], v[208:209], s[14:15]
	v_accvgpr_read_b32 v100, a84
	v_mul_f64 v[120:121], v[186:187], s[24:25]
	v_add_f64 v[42:43], v[100:101], v[42:43]
	v_mul_f64 v[118:119], v[188:189], s[22:23]
	v_add_f64 v[64:65], v[70:71], v[64:65]
	v_add_f64 v[70:71], v[120:121], -v[146:147]
	v_add_f64 v[42:43], v[2:3], v[42:43]
	v_add_f64 v[62:63], v[70:71], v[62:63]
	;; [unrolled: 1-line block ×5, first 2 shown]
	v_accvgpr_read_b32 v70, a90
	v_mul_f64 v[56:57], v[192:193], s[24:25]
	v_accvgpr_read_b32 v71, a91
	v_mul_f64 v[110:111], v[188:189], s[18:19]
	v_mul_f64 v[188:189], v[190:191], s[12:13]
	v_add_f64 v[56:57], v[56:57], -v[70:71]
	v_accvgpr_read_b32 v70, a80
	v_mul_f64 v[38:39], v[206:207], s[14:15]
	v_mul_f64 v[60:61], v[186:187], s[18:19]
	;; [unrolled: 1-line block ×4, first 2 shown]
	v_add_f64 v[48:49], v[48:49], v[66:67]
	v_add_f64 v[66:67], v[168:169], v[188:189]
	v_accvgpr_read_b32 v71, a81
	v_mul_f64 v[114:115], v[184:185], s[24:25]
	v_mul_f64 v[128:129], v[184:185], s[20:21]
	;; [unrolled: 1-line block ×4, first 2 shown]
	v_add_f64 v[64:65], v[66:67], v[64:65]
	v_add_f64 v[66:67], v[186:187], -v[162:163]
	v_add_f64 v[38:39], v[38:39], -v[70:71]
	v_mul_f64 v[112:113], v[190:191], s[24:25]
	v_mul_f64 v[190:191], v[194:195], s[20:21]
	v_mul_f64 v[158:159], v[194:195], s[18:19]
	v_mul_f64 v[124:125], v[194:195], s[14:15]
	v_mul_f64 v[194:195], v[194:195], s[22:23]
	v_add_f64 v[184:185], v[184:185], -v[214:215]
	v_add_f64 v[62:63], v[66:67], v[62:63]
	v_add_f64 v[66:67], v[156:157], v[130:131]
	;; [unrolled: 1-line block ×3, first 2 shown]
	v_mul_f64 v[68:69], v[198:199], s[14:15]
	v_mul_f64 v[198:199], v[200:201], s[14:15]
	v_add_f64 v[54:55], v[194:195], -v[216:217]
	v_add_f64 v[48:49], v[184:185], v[48:49]
	v_add_f64 v[42:43], v[66:67], v[42:43]
	v_add_f64 v[66:67], v[116:117], -v[136:137]
	v_add_f64 v[38:39], v[56:57], v[38:39]
	v_add_f64 v[48:49], v[54:55], v[48:49]
	;; [unrolled: 1-line block ×4, first 2 shown]
	v_accvgpr_read_b32 v66, a86
	v_mul_f64 v[104:105], v[200:201], s[18:19]
	v_add_f64 v[54:55], v[54:55], v[64:65]
	v_add_f64 v[64:65], v[124:125], -v[174:175]
	v_accvgpr_read_b32 v67, a87
	v_add_f64 v[62:63], v[64:65], v[62:63]
	v_add_f64 v[64:65], v[170:171], v[104:105]
	;; [unrolled: 1-line block ×3, first 2 shown]
	v_accvgpr_read_b32 v68, a78
	v_mul_f64 v[34:35], v[208:209], s[12:13]
	v_add_f64 v[42:43], v[64:65], v[42:43]
	v_add_f64 v[64:65], v[128:129], -v[148:149]
	v_accvgpr_read_b32 v69, a79
	v_add_f64 v[38:39], v[64:65], v[38:39]
	v_accvgpr_read_b32 v64, a98
	v_add_f64 v[34:35], v[68:69], v[34:35]
	;; [unrolled: 2-line block ×3, first 2 shown]
	v_add_f64 v[64:65], v[64:65], v[110:111]
	v_add_f64 v[34:35], v[66:67], v[34:35]
	;; [unrolled: 1-line block ×3, first 2 shown]
	v_accvgpr_read_b32 v64, a92
	v_accvgpr_read_b32 v65, a93
	v_add_f64 v[60:61], v[60:61], -v[64:65]
	v_accvgpr_read_b32 v64, a82
	v_mul_f64 v[40:41], v[192:193], s[14:15]
	v_accvgpr_read_b32 v65, a83
	v_add_f64 v[40:41], v[40:41], -v[64:65]
	v_accvgpr_read_b32 v64, a76
	v_add_f64 v[24:25], v[24:25], v[32:33]
	v_mul_f64 v[32:33], v[206:207], s[12:13]
	v_accvgpr_read_b32 v65, a77
	v_add_f64 v[32:33], v[32:33], -v[64:65]
	v_add_f64 v[32:33], v[0:1], v[32:33]
	v_add_f64 v[2:3], v[2:3], v[6:7]
	;; [unrolled: 1-line block ×5, first 2 shown]
	v_mul_f64 v[52:53], v[202:203], s[14:15]
	v_add_f64 v[2:3], v[2:3], v[14:15]
	v_add_f64 v[0:1], v[0:1], v[12:13]
	v_add_f64 v[52:53], v[52:53], -v[218:219]
	v_mul_f64 v[206:207], v[204:205], s[22:23]
	v_mul_f64 v[208:209], v[204:205], s[12:13]
	;; [unrolled: 1-line block ×3, first 2 shown]
	v_add_f64 v[2:3], v[2:3], v[18:19]
	v_add_f64 v[0:1], v[0:1], v[16:17]
	v_mul_f64 v[192:193], v[200:201], s[20:21]
	v_mul_f64 v[200:201], v[202:203], s[22:23]
	;; [unrolled: 1-line block ×4, first 2 shown]
	v_add_f64 v[48:49], v[52:53], v[48:49]
	v_add_f64 v[52:53], v[196:197], v[204:205]
	v_add_f64 v[2:3], v[2:3], v[22:23]
	v_add_f64 v[0:1], v[0:1], v[20:21]
	v_add_f64 v[54:55], v[52:53], v[54:55]
	v_add_f64 v[52:53], v[202:203], -v[182:183]
	v_add_f64 v[2:3], v[2:3], v[74:75]
	v_add_f64 v[0:1], v[0:1], v[72:73]
	;; [unrolled: 1-line block ×7, first 2 shown]
	v_add_f64 v[62:63], v[158:159], -v[164:165]
	v_add_f64 v[2:3], v[2:3], v[82:83]
	v_add_f64 v[0:1], v[0:1], v[80:81]
	v_add_f64 v[42:43], v[194:195], -v[176:177]
	v_add_f64 v[38:39], v[62:63], v[38:39]
	v_add_f64 v[62:63], v[144:145], v[112:113]
	;; [unrolled: 1-line block ×8, first 2 shown]
	v_add_f64 v[62:63], v[114:115], -v[138:139]
	v_add_f64 v[32:33], v[60:61], v[32:33]
	v_add_f64 v[2:3], v[2:3], v[90:91]
	;; [unrolled: 1-line block ×5, first 2 shown]
	v_add_f64 v[42:43], v[190:191], -v[150:151]
	v_add_f64 v[32:33], v[62:63], v[32:33]
	v_add_f64 v[2:3], v[2:3], v[94:95]
	;; [unrolled: 1-line block ×3, first 2 shown]
	v_accvgpr_read_b32 v4, a1
	v_add_f64 v[34:35], v[38:39], v[34:35]
	v_add_f64 v[38:39], v[200:201], -v[166:167]
	v_add_f64 v[32:33], v[42:43], v[32:33]
	v_add_f64 v[2:3], v[2:3], v[98:99]
	;; [unrolled: 1-line block ×3, first 2 shown]
	v_lshlrev_b32_e32 v4, 4, v4
	v_add_f64 v[32:33], v[38:39], v[32:33]
	ds_write_b128 v4, v[0:3]
	ds_write_b128 v4, v[32:35] offset:16
	ds_write_b128 v4, v[56:59] offset:32
	;; [unrolled: 1-line block ×12, first 2 shown]
.LBB0_7:
	s_or_b64 exec, exec, s[2:3]
	s_movk_i32 s2, 0x4f
	v_accvgpr_read_b32 v124, a0
	v_mul_lo_u16_sdwa v0, v124, s2 dst_sel:DWORD dst_unused:UNUSED_PAD src0_sel:BYTE_0 src1_sel:DWORD
	v_lshrrev_b16_e32 v62, 10, v0
	v_mul_lo_u16_e32 v0, 13, v62
	v_sub_u16_e32 v0, v124, v0
	v_and_b32_e32 v63, 0xff, v0
	v_mul_u32_u24_e32 v0, 6, v63
	v_lshlrev_b32_e32 v0, 4, v0
	s_waitcnt lgkmcnt(0)
	s_barrier
	global_load_dwordx4 v[118:121], v0, s[4:5]
	global_load_dwordx4 v[178:181], v0, s[4:5] offset:16
	global_load_dwordx4 v[174:177], v0, s[4:5] offset:32
	;; [unrolled: 1-line block ×5, first 2 shown]
	v_mul_lo_u16_sdwa v0, v36, s2 dst_sel:DWORD dst_unused:UNUSED_PAD src0_sel:BYTE_0 src1_sel:DWORD
	v_lshrrev_b16_e32 v64, 10, v0
	v_mul_lo_u16_e32 v0, 13, v64
	v_sub_u16_e32 v0, v36, v0
	v_and_b32_e32 v65, 0xff, v0
	v_mul_u32_u24_e32 v0, 6, v65
	s_movk_i32 s2, 0xb6
	v_lshlrev_b32_e32 v0, 4, v0
	s_movk_i32 s12, 0x4ec5
	v_add_co_u32_e64 v37, s[2:3], s2, v124
	global_load_dwordx4 v[148:151], v0, s[4:5]
	global_load_dwordx4 v[144:147], v0, s[4:5] offset:16
	global_load_dwordx4 v[140:143], v0, s[4:5] offset:32
	;; [unrolled: 1-line block ×5, first 2 shown]
	v_mul_u32_u24_sdwa v0, v37, s12 dst_sel:DWORD dst_unused:UNUSED_PAD src0_sel:WORD_0 src1_sel:DWORD
	v_lshrrev_b32_e32 v66, 18, v0
	v_mul_lo_u16_e32 v0, 13, v66
	v_sub_u16_e32 v67, v37, v0
	v_mul_lo_u16_e32 v0, 6, v67
	v_lshlrev_b32_e32 v0, 4, v0
	global_load_dwordx4 v[196:199], v0, s[4:5]
	global_load_dwordx4 v[192:195], v0, s[4:5] offset:16
	global_load_dwordx4 v[160:163], v0, s[4:5] offset:48
	;; [unrolled: 1-line block ×3, first 2 shown]
	ds_read_b128 v[4:7], v126
	ds_read_b128 v[8:11], v126 offset:1456
	ds_read_b128 v[12:15], v126 offset:8736
	;; [unrolled: 1-line block ×5, first 2 shown]
	global_load_dwordx4 v[156:159], v0, s[4:5] offset:80
	global_load_dwordx4 v[182:185], v0, s[4:5] offset:64
	ds_read_b128 v[28:31], v126 offset:26208
	ds_read_b128 v[32:35], v126 offset:27664
	;; [unrolled: 1-line block ×15, first 2 shown]
	s_mov_b32 s14, 0x37e14327
	s_mov_b32 s12, 0x36b3c0b5
	;; [unrolled: 1-line block ×20, first 2 shown]
	v_mul_u32_u24_e32 v62, 0x5b, v62
	v_add_lshl_u32 v190, v62, v63, 4
	s_waitcnt lgkmcnt(0)
	s_barrier
	s_movk_i32 s2, 0x60
	s_waitcnt vmcnt(17)
	v_accvgpr_write_b32 a88, v118
	s_waitcnt vmcnt(16)
	v_mul_f64 v[96:97], v[14:15], v[180:181]
	v_mul_f64 v[98:99], v[12:13], v[180:181]
	s_waitcnt vmcnt(14)
	v_mul_f64 v[106:107], v[20:21], v[172:173]
	s_waitcnt vmcnt(13)
	;; [unrolled: 2-line block ×3, first 2 shown]
	v_mul_f64 v[116:117], v[28:29], v[130:131]
	v_mul_f64 v[114:115], v[30:31], v[130:131]
	v_fmac_f64_e32 v[116:117], v[30:31], v[128:129]
	v_mul_f64 v[100:101], v[52:53], v[176:177]
	v_mul_f64 v[104:105], v[22:23], v[172:173]
	;; [unrolled: 1-line block ×3, first 2 shown]
	v_fmac_f64_e32 v[106:107], v[22:23], v[170:171]
	v_fma_f64 v[22:23], v[72:73], v[132:133], -v[110:111]
	v_fma_f64 v[12:13], v[12:13], v[178:179], -v[96:97]
	s_waitcnt vmcnt(11)
	v_mul_f64 v[30:31], v[44:45], v[150:151]
	v_fma_f64 v[72:73], v[42:43], v[148:149], -v[30:31]
	s_waitcnt vmcnt(10)
	v_mul_f64 v[30:31], v[18:19], v[146:147]
	v_fmac_f64_e32 v[98:99], v[14:15], v[178:179]
	v_fma_f64 v[14:15], v[50:51], v[174:175], -v[100:101]
	v_fma_f64 v[96:97], v[16:17], v[144:145], -v[30:31]
	v_mul_f64 v[100:101], v[16:17], v[146:147]
	s_waitcnt vmcnt(9)
	v_mul_f64 v[16:17], v[60:61], v[142:143]
	v_fma_f64 v[20:21], v[20:21], v[170:171], -v[104:105]
	v_fma_f64 v[104:105], v[58:59], v[140:141], -v[16:17]
	s_waitcnt vmcnt(8)
	v_mul_f64 v[16:17], v[26:27], v[138:139]
	v_fma_f64 v[28:29], v[28:29], v[128:129], -v[114:115]
	v_fma_f64 v[114:115], v[24:25], v[136:137], -v[16:17]
	s_waitcnt vmcnt(6)
	v_mul_f64 v[16:17], v[82:83], v[166:167]
	v_mul_f64 v[92:93], v[40:41], v[120:121]
	;; [unrolled: 1-line block ×3, first 2 shown]
	v_accvgpr_write_b32 a89, v119
	v_accvgpr_write_b32 a90, v120
	;; [unrolled: 1-line block ×3, first 2 shown]
	v_fma_f64 v[120:121], v[80:81], v[164:165], -v[16:17]
	v_mul_f64 v[80:81], v[80:81], v[166:167]
	v_mul_f64 v[16:17], v[34:35], v[154:155]
	v_fmac_f64_e32 v[80:81], v[82:83], v[164:165]
	v_fma_f64 v[82:83], v[32:33], v[152:153], -v[16:17]
	s_waitcnt vmcnt(5)
	v_mul_f64 v[16:17], v[48:49], v[198:199]
	v_fma_f64 v[92:93], v[38:39], v[118:119], -v[92:93]
	v_fma_f64 v[38:39], v[46:47], v[196:197], -v[16:17]
	s_waitcnt vmcnt(4)
	v_mul_f64 v[16:17], v[56:57], v[194:195]
	v_fmac_f64_e32 v[112:113], v[74:75], v[132:133]
	v_mul_f64 v[74:75], v[42:43], v[150:151]
	v_fma_f64 v[42:43], v[54:55], v[192:193], -v[16:17]
	s_waitcnt vmcnt(2)
	v_mul_f64 v[16:17], v[70:71], v[188:189]
	v_fmac_f64_e32 v[94:95], v[40:41], v[118:119]
	v_mul_f64 v[40:41], v[46:47], v[198:199]
	v_fma_f64 v[46:47], v[68:69], v[186:187], -v[16:17]
	v_mul_f64 v[16:17], v[78:79], v[162:163]
	v_mul_f64 v[102:103], v[50:51], v[176:177]
	v_fma_f64 v[50:51], v[76:77], v[160:161], -v[16:17]
	s_waitcnt vmcnt(0)
	v_mul_f64 v[16:17], v[86:87], v[184:185]
	v_fmac_f64_e32 v[74:75], v[44:45], v[148:149]
	v_mul_f64 v[44:45], v[54:55], v[194:195]
	v_fma_f64 v[54:55], v[84:85], v[182:183], -v[16:17]
	v_mul_f64 v[16:17], v[90:91], v[158:159]
	v_mul_f64 v[110:111], v[58:59], v[142:143]
	;; [unrolled: 1-line block ×3, first 2 shown]
	v_fma_f64 v[58:59], v[88:89], v[156:157], -v[16:17]
	v_add_f64 v[16:17], v[92:93], v[28:29]
	v_add_f64 v[24:25], v[92:93], -v[28:29]
	v_add_f64 v[28:29], v[12:13], v[22:23]
	v_fmac_f64_e32 v[102:103], v[52:53], v[174:175]
	v_fmac_f64_e32 v[100:101], v[18:19], v[144:145]
	v_mul_f64 v[122:123], v[32:33], v[154:155]
	v_fmac_f64_e32 v[40:41], v[48:49], v[196:197]
	v_mul_f64 v[48:49], v[68:69], v[188:189]
	v_add_f64 v[18:19], v[94:95], v[116:117]
	v_add_f64 v[30:31], v[98:99], v[112:113]
	;; [unrolled: 1-line block ×4, first 2 shown]
	v_fmac_f64_e32 v[122:123], v[34:35], v[152:153]
	v_fmac_f64_e32 v[48:49], v[70:71], v[186:187]
	v_mul_f64 v[52:53], v[76:77], v[162:163]
	v_add_f64 v[34:35], v[102:103], v[106:107]
	v_add_f64 v[70:71], v[30:31], v[18:19]
	v_add_f64 v[76:77], v[28:29], -v[16:17]
	v_add_f64 v[16:17], v[16:17], -v[32:33]
	;; [unrolled: 1-line block ×3, first 2 shown]
	v_add_f64 v[32:33], v[32:33], v[68:69]
	v_fmac_f64_e32 v[110:111], v[60:61], v[140:141]
	v_fmac_f64_e32 v[44:45], v[56:57], v[192:193]
	;; [unrolled: 1-line block ×3, first 2 shown]
	v_mul_f64 v[56:57], v[84:85], v[184:185]
	v_mul_f64 v[60:61], v[88:89], v[158:159]
	v_add_f64 v[12:13], v[12:13], -v[22:23]
	v_add_f64 v[22:23], v[98:99], -v[112:113]
	;; [unrolled: 1-line block ×7, first 2 shown]
	v_add_f64 v[34:35], v[34:35], v[70:71]
	v_add_f64 v[4:5], v[4:5], v[32:33]
	v_fmac_f64_e32 v[118:119], v[26:27], v[136:137]
	v_fmac_f64_e32 v[56:57], v[86:87], v[182:183]
	;; [unrolled: 1-line block ×3, first 2 shown]
	v_add_f64 v[26:27], v[94:95], -v[116:117]
	v_add_f64 v[84:85], v[14:15], v[12:13]
	v_add_f64 v[86:87], v[20:21], v[22:23]
	v_add_f64 v[88:89], v[14:15], -v[12:13]
	v_add_f64 v[90:91], v[20:21], -v[22:23]
	v_add_f64 v[6:7], v[6:7], v[34:35]
	v_pk_mov_b32 v[92:93], v[4:5], v[4:5] op_sel:[0,1]
	v_add_f64 v[14:15], v[24:25], -v[14:15]
	v_add_f64 v[20:21], v[26:27], -v[20:21]
	;; [unrolled: 1-line block ×4, first 2 shown]
	v_add_f64 v[24:25], v[84:85], v[24:25]
	v_add_f64 v[26:27], v[86:87], v[26:27]
	v_mul_f64 v[16:17], v[16:17], s[14:15]
	v_mul_f64 v[18:19], v[18:19], s[14:15]
	;; [unrolled: 1-line block ×6, first 2 shown]
	v_fmac_f64_e32 v[92:93], s[22:23], v[32:33]
	v_pk_mov_b32 v[32:33], v[6:7], v[6:7] op_sel:[0,1]
	v_mul_f64 v[88:89], v[12:13], s[18:19]
	v_mul_f64 v[90:91], v[22:23], s[18:19]
	v_fmac_f64_e32 v[32:33], s[22:23], v[34:35]
	v_fma_f64 v[34:35], v[76:77], s[24:25], -v[68:69]
	v_fma_f64 v[68:69], v[78:79], s[24:25], -v[70:71]
	;; [unrolled: 1-line block ×3, first 2 shown]
	v_fmac_f64_e32 v[16:17], s[12:13], v[28:29]
	v_fma_f64 v[28:29], v[78:79], s[26:27], -v[18:19]
	v_fmac_f64_e32 v[18:19], s[12:13], v[30:31]
	v_fma_f64 v[30:31], v[12:13], s[18:19], -v[84:85]
	v_fma_f64 v[76:77], v[22:23], s[18:19], -v[86:87]
	v_fmac_f64_e32 v[84:85], s[28:29], v[14:15]
	v_fmac_f64_e32 v[86:87], s[28:29], v[20:21]
	v_fma_f64 v[78:79], v[14:15], s[34:35], -v[88:89]
	v_fma_f64 v[88:89], v[20:21], s[34:35], -v[90:91]
	v_add_f64 v[34:35], v[34:35], v[92:93]
	v_add_f64 v[68:69], v[68:69], v[32:33]
	v_fmac_f64_e32 v[30:31], s[30:31], v[24:25]
	v_fmac_f64_e32 v[76:77], s[30:31], v[26:27]
	v_add_f64 v[94:95], v[18:19], v[32:33]
	v_add_f64 v[70:71], v[70:71], v[92:93]
	;; [unrolled: 1-line block ×3, first 2 shown]
	v_fmac_f64_e32 v[84:85], s[30:31], v[24:25]
	v_fmac_f64_e32 v[86:87], s[30:31], v[26:27]
	v_fmac_f64_e32 v[78:79], s[30:31], v[24:25]
	v_fmac_f64_e32 v[88:89], s[30:31], v[26:27]
	v_add_f64 v[20:21], v[34:35], -v[76:77]
	v_add_f64 v[22:23], v[30:31], v[68:69]
	v_add_f64 v[24:25], v[76:77], v[34:35]
	v_add_f64 v[26:27], v[68:69], -v[30:31]
	v_add_f64 v[68:69], v[72:73], v[82:83]
	v_add_f64 v[76:77], v[96:97], v[120:121]
	;; [unrolled: 1-line block ×3, first 2 shown]
	v_add_f64 v[14:15], v[94:95], -v[84:85]
	v_add_f64 v[16:17], v[88:89], v[70:71]
	v_add_f64 v[18:19], v[32:33], -v[78:79]
	v_add_f64 v[28:29], v[70:71], -v[88:89]
	v_add_f64 v[30:31], v[78:79], v[32:33]
	v_add_f64 v[34:35], v[84:85], v[94:95]
	;; [unrolled: 1-line block ×7, first 2 shown]
	v_add_f64 v[32:33], v[90:91], -v[86:87]
	v_add_f64 v[72:73], v[72:73], -v[82:83]
	;; [unrolled: 1-line block ×3, first 2 shown]
	v_add_f64 v[86:87], v[110:111], v[118:119]
	v_add_f64 v[94:95], v[78:79], v[70:71]
	v_add_f64 v[96:97], v[76:77], -v[68:69]
	v_add_f64 v[68:69], v[68:69], -v[84:85]
	;; [unrolled: 1-line block ×3, first 2 shown]
	v_add_f64 v[84:85], v[84:85], v[92:93]
	v_add_f64 v[88:89], v[114:115], -v[104:105]
	v_add_f64 v[98:99], v[78:79], -v[70:71]
	v_add_f64 v[70:71], v[70:71], -v[86:87]
	v_add_f64 v[78:79], v[86:87], -v[78:79]
	v_add_f64 v[86:87], v[86:87], v[94:95]
	v_add_f64 v[8:9], v[8:9], v[84:85]
	v_add_f64 v[74:75], v[74:75], -v[122:123]
	v_add_f64 v[80:81], v[100:101], -v[80:81]
	;; [unrolled: 1-line block ×3, first 2 shown]
	v_add_f64 v[100:101], v[88:89], v[82:83]
	v_add_f64 v[104:105], v[88:89], -v[82:83]
	v_add_f64 v[10:11], v[10:11], v[86:87]
	v_pk_mov_b32 v[110:111], v[8:9], v[8:9] op_sel:[0,1]
	v_add_f64 v[102:103], v[90:91], v[80:81]
	v_add_f64 v[106:107], v[90:91], -v[80:81]
	v_add_f64 v[88:89], v[72:73], -v[88:89]
	;; [unrolled: 1-line block ×4, first 2 shown]
	v_add_f64 v[72:73], v[100:101], v[72:73]
	v_mul_f64 v[92:93], v[76:77], s[12:13]
	v_mul_f64 v[94:95], v[78:79], s[12:13]
	;; [unrolled: 1-line block ×3, first 2 shown]
	v_fmac_f64_e32 v[110:111], s[22:23], v[84:85]
	v_pk_mov_b32 v[84:85], v[10:11], v[10:11] op_sel:[0,1]
	v_add_f64 v[90:91], v[74:75], -v[90:91]
	v_add_f64 v[74:75], v[102:103], v[74:75]
	v_mul_f64 v[68:69], v[68:69], s[14:15]
	v_mul_f64 v[102:103], v[106:107], s[20:21]
	;; [unrolled: 1-line block ×4, first 2 shown]
	v_fmac_f64_e32 v[84:85], s[22:23], v[86:87]
	v_fma_f64 v[86:87], v[96:97], s[24:25], -v[92:93]
	v_fma_f64 v[92:93], v[98:99], s[24:25], -v[94:95]
	v_fma_f64 v[82:83], v[82:83], s[18:19], -v[100:101]
	v_mul_f64 v[70:71], v[70:71], s[14:15]
	v_fma_f64 v[94:95], v[96:97], s[26:27], -v[68:69]
	v_fma_f64 v[80:81], v[80:81], s[18:19], -v[102:103]
	v_fmac_f64_e32 v[102:103], s[28:29], v[90:91]
	v_fma_f64 v[90:91], v[90:91], s[34:35], -v[106:107]
	v_add_f64 v[92:93], v[92:93], v[84:85]
	v_fmac_f64_e32 v[82:83], s[30:31], v[72:73]
	v_fmac_f64_e32 v[68:69], s[12:13], v[76:77]
	v_fma_f64 v[76:77], v[98:99], s[26:27], -v[70:71]
	v_fmac_f64_e32 v[70:71], s[12:13], v[78:79]
	v_fmac_f64_e32 v[100:101], s[28:29], v[88:89]
	v_fma_f64 v[88:89], v[88:89], s[34:35], -v[104:105]
	v_add_f64 v[94:95], v[94:95], v[110:111]
	v_fmac_f64_e32 v[90:91], s[30:31], v[74:75]
	v_add_f64 v[78:79], v[82:83], v[92:93]
	v_add_f64 v[82:83], v[92:93], -v[82:83]
	v_add_f64 v[92:93], v[38:39], v[58:59]
	v_add_f64 v[38:39], v[38:39], -v[58:59]
	v_add_f64 v[58:59], v[42:43], v[54:55]
	v_add_f64 v[98:99], v[70:71], v[84:85]
	;; [unrolled: 1-line block ×3, first 2 shown]
	v_fmac_f64_e32 v[100:101], s[30:31], v[72:73]
	v_fmac_f64_e32 v[88:89], s[30:31], v[72:73]
	v_add_f64 v[72:73], v[90:91], v[94:95]
	v_add_f64 v[84:85], v[94:95], -v[90:91]
	v_add_f64 v[94:95], v[40:41], v[60:61]
	v_add_f64 v[40:41], v[40:41], -v[60:61]
	;; [unrolled: 2-line block ×6, first 2 shown]
	v_add_f64 v[52:53], v[60:61], v[94:95]
	v_add_f64 v[50:51], v[54:55], v[50:51]
	v_add_f64 v[96:97], v[68:69], v[110:111]
	v_add_f64 v[86:87], v[86:87], v[110:111]
	v_fmac_f64_e32 v[102:103], s[30:31], v[74:75]
	v_fmac_f64_e32 v[80:81], s[30:31], v[74:75]
	v_add_f64 v[52:53], v[56:57], v[52:53]
	v_add_f64 v[0:1], v[0:1], v[50:51]
	;; [unrolled: 1-line block ×3, first 2 shown]
	v_add_f64 v[70:71], v[98:99], -v[100:101]
	v_add_f64 v[74:75], v[104:105], -v[88:89]
	;; [unrolled: 1-line block ×3, first 2 shown]
	v_add_f64 v[80:81], v[80:81], v[86:87]
	v_add_f64 v[86:87], v[88:89], v[104:105]
	v_add_f64 v[88:89], v[96:97], -v[102:103]
	v_add_f64 v[90:91], v[100:101], v[98:99]
	v_add_f64 v[96:97], v[58:59], -v[92:93]
	v_add_f64 v[98:99], v[60:61], -v[94:95]
	;; [unrolled: 1-line block ×6, first 2 shown]
	v_add_f64 v[100:101], v[46:47], v[42:43]
	v_add_f64 v[102:103], v[48:49], v[44:45]
	v_add_f64 v[104:105], v[46:47], -v[42:43]
	v_add_f64 v[106:107], v[48:49], -v[44:45]
	;; [unrolled: 1-line block ×4, first 2 shown]
	v_add_f64 v[2:3], v[2:3], v[52:53]
	v_pk_mov_b32 v[110:111], v[0:1], v[0:1] op_sel:[0,1]
	v_add_f64 v[46:47], v[38:39], -v[46:47]
	v_add_f64 v[48:49], v[40:41], -v[48:49]
	v_add_f64 v[38:39], v[100:101], v[38:39]
	v_add_f64 v[40:41], v[102:103], v[40:41]
	v_mul_f64 v[54:55], v[92:93], s[14:15]
	v_mul_f64 v[56:57], v[94:95], s[14:15]
	;; [unrolled: 1-line block ×8, first 2 shown]
	v_fmac_f64_e32 v[110:111], s[22:23], v[50:51]
	v_pk_mov_b32 v[50:51], v[2:3], v[2:3] op_sel:[0,1]
	ds_write_b128 v190, v[4:7]
	ds_write_b128 v190, v[12:15] offset:208
	ds_write_b128 v190, v[16:19] offset:416
	ds_write_b128 v190, v[20:23] offset:624
	ds_write_b128 v190, v[24:27] offset:832
	ds_write_b128 v190, v[28:31] offset:1040
	ds_write_b128 v190, v[32:35] offset:1248
	v_mul_u32_u24_e32 v4, 0x5b, v64
	v_accvgpr_write_b32 a120, v152
	v_fmac_f64_e32 v[50:51], s[22:23], v[52:53]
	v_fma_f64 v[52:53], v[96:97], s[24:25], -v[92:93]
	v_fma_f64 v[92:93], v[98:99], s[24:25], -v[94:95]
	;; [unrolled: 1-line block ×3, first 2 shown]
	v_fmac_f64_e32 v[54:55], s[12:13], v[58:59]
	v_fma_f64 v[58:59], v[98:99], s[26:27], -v[56:57]
	v_fmac_f64_e32 v[56:57], s[12:13], v[60:61]
	v_fma_f64 v[60:61], v[42:43], s[18:19], -v[100:101]
	;; [unrolled: 2-line block ×4, first 2 shown]
	v_fma_f64 v[104:105], v[48:49], s[34:35], -v[106:107]
	v_add_lshl_u32 v191, v4, v65, 4
	v_mad_legacy_u16 v4, v66, s16, v67
	v_accvgpr_write_b32 a121, v153
	v_accvgpr_write_b32 a122, v154
	;; [unrolled: 1-line block ×3, first 2 shown]
	v_add_f64 v[106:107], v[54:55], v[110:111]
	v_add_f64 v[112:113], v[56:57], v[50:51]
	v_add_f64 v[52:53], v[52:53], v[110:111]
	v_add_f64 v[54:55], v[92:93], v[50:51]
	v_add_f64 v[56:57], v[94:95], v[110:111]
	v_add_f64 v[58:59], v[58:59], v[50:51]
	v_fmac_f64_e32 v[100:101], s[30:31], v[38:39]
	v_fmac_f64_e32 v[102:103], s[30:31], v[40:41]
	;; [unrolled: 1-line block ×6, first 2 shown]
	v_lshlrev_b32_e32 v152, 4, v4
	v_add_f64 v[38:39], v[102:103], v[106:107]
	v_add_f64 v[40:41], v[112:113], -v[100:101]
	v_add_f64 v[42:43], v[104:105], v[56:57]
	v_add_f64 v[44:45], v[58:59], -v[98:99]
	v_add_f64 v[46:47], v[52:53], -v[96:97]
	v_add_f64 v[48:49], v[60:61], v[54:55]
	v_add_f64 v[50:51], v[96:97], v[52:53]
	v_add_f64 v[52:53], v[54:55], -v[60:61]
	v_add_f64 v[54:55], v[56:57], -v[104:105]
	v_add_f64 v[56:57], v[98:99], v[58:59]
	v_add_f64 v[58:59], v[106:107], -v[102:103]
	v_add_f64 v[60:61], v[100:101], v[112:113]
	ds_write_b128 v191, v[8:11]
	ds_write_b128 v191, v[68:71] offset:208
	ds_write_b128 v191, v[72:75] offset:416
	;; [unrolled: 1-line block ×6, first 2 shown]
	ds_write_b128 v152, v[0:3]
	ds_write_b128 v152, v[38:41] offset:208
	ds_write_b128 v152, v[42:45] offset:416
	;; [unrolled: 1-line block ×6, first 2 shown]
	v_pk_mov_b32 v[0:1], s[4:5], s[4:5] op_sel:[0,1]
	v_mad_u64_u32 v[0:1], s[2:3], v124, s2, v[0:1]
	s_movk_i32 s2, 0x6817
	s_waitcnt lgkmcnt(0)
	s_barrier
	global_load_dwordx4 v[92:95], v[0:1], off offset:1248
	global_load_dwordx4 v[80:83], v[0:1], off offset:1264
	global_load_dwordx4 v[76:79], v[0:1], off offset:1280
	global_load_dwordx4 v[72:75], v[0:1], off offset:1296
	global_load_dwordx4 v[88:91], v[0:1], off offset:1312
	global_load_dwordx4 v[84:87], v[0:1], off offset:1328
	v_mul_u32_u24_sdwa v0, v37, s2 dst_sel:DWORD dst_unused:UNUSED_PAD src0_sel:WORD_0 src1_sel:DWORD
	v_sub_u16_sdwa v1, v37, v0 dst_sel:DWORD dst_unused:UNUSED_PAD src0_sel:DWORD src1_sel:WORD_1
	v_lshrrev_b16_e32 v1, 1, v1
	v_add_u16_sdwa v0, v1, v0 dst_sel:DWORD dst_unused:UNUSED_PAD src0_sel:DWORD src1_sel:WORD_1
	v_lshrrev_b16_e32 v0, 6, v0
	v_mul_lo_u16_e32 v0, 0x5b, v0
	v_sub_u16_e32 v56, v37, v0
	v_mul_lo_u16_e32 v0, 0x60, v56
	v_mov_b32_e32 v54, s5
	v_add_co_u32_e64 v0, s[2:3], s4, v0
	v_accvgpr_write_b32 a132, v164
	v_accvgpr_write_b32 a128, v160
	v_addc_co_u32_e64 v1, s[2:3], 0, v54, s[2:3]
	v_accvgpr_write_b32 a133, v165
	v_accvgpr_write_b32 a134, v166
	;; [unrolled: 1-line block ×7, first 2 shown]
	global_load_dwordx4 v[166:169], v[0:1], off offset:1248
	global_load_dwordx4 v[162:165], v[0:1], off offset:1264
	v_accvgpr_write_b32 a125, v157
	v_accvgpr_write_b32 a126, v158
	;; [unrolled: 1-line block ×3, first 2 shown]
	global_load_dwordx4 v[154:157], v[0:1], off offset:1296
	global_load_dwordx4 v[158:161], v[0:1], off offset:1280
	v_accvgpr_write_b32 a112, v144
	v_accvgpr_write_b32 a108, v140
	;; [unrolled: 1-line block ×8, first 2 shown]
	ds_read_b128 v[4:7], v126
	ds_read_b128 v[8:11], v126 offset:1456
	ds_read_b128 v[12:15], v126 offset:8736
	;; [unrolled: 1-line block ×5, first 2 shown]
	global_load_dwordx4 v[140:143], v[0:1], off offset:1328
	global_load_dwordx4 v[144:147], v[0:1], off offset:1312
	ds_read_b128 v[28:31], v126 offset:26208
	ds_read_b128 v[32:35], v126 offset:27664
	;; [unrolled: 1-line block ×15, first 2 shown]
	v_lshlrev_b32_e32 v55, 5, v124
	v_accvgpr_write_b32 a96, v128
	v_accvgpr_write_b32 a100, v132
	;; [unrolled: 1-line block ×20, first 2 shown]
	v_lshlrev_b32_e32 v153, 4, v56
	s_waitcnt lgkmcnt(0)
	s_barrier
	s_movk_i32 s5, 0x2700
	v_accvgpr_write_b32 a116, v148
	v_accvgpr_write_b32 a117, v149
	;; [unrolled: 1-line block ×4, first 2 shown]
	s_waitcnt vmcnt(11)
	v_mul_f64 v[70:71], v[40:41], v[94:95]
	v_fma_f64 v[70:71], v[38:39], v[92:93], -v[70:71]
	v_mul_f64 v[118:119], v[38:39], v[94:95]
	s_waitcnt vmcnt(10)
	v_mul_f64 v[38:39], v[14:15], v[82:83]
	v_fma_f64 v[120:121], v[12:13], v[80:81], -v[38:39]
	s_waitcnt vmcnt(8)
	v_mul_f64 v[38:39], v[22:23], v[74:75]
	v_fma_f64 v[124:125], v[20:21], v[72:73], -v[38:39]
	v_mul_f64 v[20:21], v[20:21], v[74:75]
	v_fmac_f64_e32 v[20:21], v[22:23], v[72:73]
	s_waitcnt vmcnt(7)
	v_mul_f64 v[22:23], v[98:99], v[90:91]
	v_fma_f64 v[22:23], v[96:97], v[88:89], -v[22:23]
	v_mul_f64 v[96:97], v[96:97], v[90:91]
	s_waitcnt vmcnt(6)
	v_mul_f64 v[38:39], v[30:31], v[86:87]
	v_fmac_f64_e32 v[96:97], v[98:99], v[88:89]
	v_fma_f64 v[98:99], v[28:29], v[84:85], -v[38:39]
	v_mul_f64 v[28:29], v[28:29], v[86:87]
	v_fmac_f64_e32 v[28:29], v[30:31], v[84:85]
	v_mul_f64 v[30:31], v[44:45], v[94:95]
	v_fma_f64 v[128:129], v[42:43], v[92:93], -v[30:31]
	v_mul_f64 v[30:31], v[18:19], v[82:83]
	v_fma_f64 v[132:133], v[16:17], v[80:81], -v[30:31]
	v_mul_f64 v[134:135], v[16:17], v[82:83]
	v_mul_f64 v[16:17], v[64:65], v[78:79]
	v_fma_f64 v[136:137], v[62:63], v[76:77], -v[16:17]
	v_mul_f64 v[62:63], v[62:63], v[78:79]
	v_mul_f64 v[16:17], v[26:27], v[74:75]
	v_fmac_f64_e32 v[62:63], v[64:65], v[76:77]
	v_fma_f64 v[64:65], v[24:25], v[72:73], -v[16:17]
	v_mul_f64 v[16:17], v[106:107], v[90:91]
	v_fma_f64 v[184:185], v[104:105], v[88:89], -v[16:17]
	v_mul_f64 v[104:105], v[104:105], v[90:91]
	v_mul_f64 v[16:17], v[34:35], v[86:87]
	v_fmac_f64_e32 v[104:105], v[106:107], v[88:89]
	v_fma_f64 v[106:107], v[32:33], v[84:85], -v[16:17]
	s_waitcnt vmcnt(5)
	v_mul_f64 v[16:17], v[48:49], v[168:169]
	v_fma_f64 v[38:39], v[46:47], v[166:167], -v[16:17]
	s_waitcnt vmcnt(4)
	v_mul_f64 v[16:17], v[60:61], v[164:165]
	v_mul_f64 v[12:13], v[12:13], v[82:83]
	;; [unrolled: 1-line block ×3, first 2 shown]
	v_fma_f64 v[42:43], v[58:59], v[162:163], -v[16:17]
	s_waitcnt vmcnt(2)
	v_mul_f64 v[16:17], v[68:69], v[160:161]
	v_fmac_f64_e32 v[118:119], v[40:41], v[92:93]
	v_fmac_f64_e32 v[12:13], v[14:15], v[80:81]
	v_mul_f64 v[14:15], v[52:53], v[78:79]
	v_mul_f64 v[40:41], v[46:47], v[168:169]
	v_fma_f64 v[46:47], v[66:67], v[158:159], -v[16:17]
	v_mul_f64 v[16:17], v[102:103], v[156:157]
	v_fma_f64 v[14:15], v[50:51], v[76:77], -v[14:15]
	;; [unrolled: 2-line block ×3, first 2 shown]
	s_waitcnt vmcnt(0)
	v_mul_f64 v[16:17], v[112:113], v[146:147]
	v_mul_f64 v[138:139], v[24:25], v[74:75]
	v_fma_f64 v[188:189], v[110:111], v[144:145], -v[16:17]
	v_mul_f64 v[110:111], v[110:111], v[146:147]
	v_mul_f64 v[16:17], v[116:117], v[142:143]
	v_fmac_f64_e32 v[134:135], v[18:19], v[80:81]
	v_fmac_f64_e32 v[138:139], v[26:27], v[72:73]
	v_fmac_f64_e32 v[110:111], v[112:113], v[144:145]
	v_fma_f64 v[112:113], v[114:115], v[140:141], -v[16:17]
	v_add_f64 v[16:17], v[70:71], v[98:99]
	v_add_f64 v[18:19], v[118:119], v[28:29]
	v_add_f64 v[26:27], v[118:119], -v[28:29]
	v_add_f64 v[28:29], v[120:121], v[22:23]
	v_fmac_f64_e32 v[122:123], v[52:53], v[76:77]
	v_fmac_f64_e32 v[130:131], v[44:45], v[92:93]
	v_mul_f64 v[186:187], v[32:33], v[86:87]
	v_mul_f64 v[44:45], v[58:59], v[164:165]
	v_add_f64 v[30:31], v[12:13], v[96:97]
	v_add_f64 v[32:33], v[14:15], v[124:125]
	;; [unrolled: 1-line block ×3, first 2 shown]
	v_fmac_f64_e32 v[186:187], v[34:35], v[84:85]
	v_fmac_f64_e32 v[40:41], v[48:49], v[166:167]
	;; [unrolled: 1-line block ×3, first 2 shown]
	v_mul_f64 v[48:49], v[66:67], v[160:161]
	v_add_f64 v[34:35], v[122:123], v[20:21]
	v_add_f64 v[60:61], v[30:31], v[18:19]
	v_add_f64 v[66:67], v[28:29], -v[16:17]
	v_add_f64 v[16:17], v[16:17], -v[32:33]
	;; [unrolled: 1-line block ×3, first 2 shown]
	v_add_f64 v[32:33], v[32:33], v[58:59]
	v_fmac_f64_e32 v[48:49], v[68:69], v[158:159]
	v_mul_f64 v[52:53], v[100:101], v[156:157]
	v_add_f64 v[22:23], v[120:121], -v[22:23]
	v_add_f64 v[12:13], v[12:13], -v[96:97]
	;; [unrolled: 1-line block ×7, first 2 shown]
	v_add_f64 v[34:35], v[34:35], v[60:61]
	v_add_f64 v[4:5], v[4:5], v[32:33]
	v_fmac_f64_e32 v[52:53], v[102:103], v[154:155]
	v_add_f64 v[24:25], v[70:71], -v[98:99]
	v_add_f64 v[70:71], v[14:15], v[22:23]
	v_add_f64 v[96:97], v[20:21], v[12:13]
	v_add_f64 v[98:99], v[14:15], -v[22:23]
	v_add_f64 v[100:101], v[20:21], -v[12:13]
	v_add_f64 v[6:7], v[6:7], v[34:35]
	v_pk_mov_b32 v[102:103], v[4:5], v[4:5] op_sel:[0,1]
	v_add_f64 v[14:15], v[24:25], -v[14:15]
	v_add_f64 v[20:21], v[26:27], -v[20:21]
	;; [unrolled: 1-line block ×4, first 2 shown]
	v_add_f64 v[24:25], v[70:71], v[24:25]
	v_add_f64 v[26:27], v[96:97], v[26:27]
	v_mul_f64 v[16:17], v[16:17], s[14:15]
	v_mul_f64 v[18:19], v[18:19], s[14:15]
	;; [unrolled: 1-line block ×6, first 2 shown]
	v_fmac_f64_e32 v[102:103], s[22:23], v[32:33]
	v_pk_mov_b32 v[32:33], v[6:7], v[6:7] op_sel:[0,1]
	v_mul_f64 v[114:115], v[114:115], v[142:143]
	v_mul_f64 v[98:99], v[22:23], s[18:19]
	;; [unrolled: 1-line block ×3, first 2 shown]
	v_fmac_f64_e32 v[32:33], s[22:23], v[34:35]
	v_fma_f64 v[34:35], v[66:67], s[24:25], -v[58:59]
	v_fma_f64 v[58:59], v[68:69], s[24:25], -v[60:61]
	;; [unrolled: 1-line block ×3, first 2 shown]
	v_fmac_f64_e32 v[16:17], s[12:13], v[28:29]
	v_fma_f64 v[28:29], v[68:69], s[26:27], -v[18:19]
	v_fmac_f64_e32 v[18:19], s[12:13], v[30:31]
	v_fma_f64 v[30:31], v[22:23], s[18:19], -v[70:71]
	;; [unrolled: 2-line block ×3, first 2 shown]
	v_fmac_f64_e32 v[114:115], v[116:117], v[140:141]
	v_fmac_f64_e32 v[96:97], s[28:29], v[20:21]
	v_fma_f64 v[68:69], v[14:15], s[34:35], -v[98:99]
	v_fma_f64 v[98:99], v[20:21], s[34:35], -v[100:101]
	v_add_f64 v[116:117], v[18:19], v[32:33]
	v_add_f64 v[34:35], v[34:35], v[102:103]
	;; [unrolled: 1-line block ×3, first 2 shown]
	v_fmac_f64_e32 v[70:71], s[30:31], v[24:25]
	v_fmac_f64_e32 v[30:31], s[30:31], v[24:25]
	;; [unrolled: 1-line block ×3, first 2 shown]
	v_add_f64 v[100:101], v[16:17], v[102:103]
	v_add_f64 v[60:61], v[60:61], v[102:103]
	;; [unrolled: 1-line block ×3, first 2 shown]
	v_fmac_f64_e32 v[96:97], s[30:31], v[26:27]
	v_fmac_f64_e32 v[68:69], s[30:31], v[24:25]
	;; [unrolled: 1-line block ×3, first 2 shown]
	v_add_f64 v[14:15], v[116:117], -v[70:71]
	v_add_f64 v[20:21], v[34:35], -v[66:67]
	v_add_f64 v[22:23], v[30:31], v[58:59]
	v_add_f64 v[24:25], v[66:67], v[34:35]
	v_add_f64 v[26:27], v[58:59], -v[30:31]
	v_add_f64 v[34:35], v[70:71], v[116:117]
	v_add_f64 v[58:59], v[128:129], v[106:107]
	;; [unrolled: 1-line block ×5, first 2 shown]
	v_add_f64 v[18:19], v[32:33], -v[68:69]
	v_add_f64 v[28:29], v[60:61], -v[98:99]
	v_add_f64 v[30:31], v[68:69], v[32:33]
	v_add_f64 v[32:33], v[100:101], -v[96:97]
	v_add_f64 v[60:61], v[130:131], v[186:187]
	;; [unrolled: 2-line block ×3, first 2 shown]
	v_add_f64 v[102:103], v[136:137], v[64:65]
	v_add_f64 v[106:107], v[70:71], v[58:59]
	v_add_f64 v[100:101], v[134:135], -v[104:105]
	v_add_f64 v[104:105], v[62:63], v[138:139]
	v_add_f64 v[116:117], v[96:97], v[60:61]
	v_add_f64 v[118:119], v[70:71], -v[58:59]
	v_add_f64 v[58:59], v[58:59], -v[102:103]
	;; [unrolled: 1-line block ×3, first 2 shown]
	v_add_f64 v[102:103], v[102:103], v[106:107]
	v_add_f64 v[98:99], v[132:133], -v[184:185]
	v_add_f64 v[64:65], v[64:65], -v[136:137]
	;; [unrolled: 1-line block ×5, first 2 shown]
	v_add_f64 v[104:105], v[104:105], v[116:117]
	v_add_f64 v[8:9], v[8:9], v[102:103]
	v_add_f64 v[68:69], v[130:131], -v[186:187]
	v_add_f64 v[62:63], v[138:139], -v[62:63]
	v_add_f64 v[122:123], v[64:65], v[98:99]
	v_add_f64 v[128:129], v[64:65], -v[98:99]
	v_add_f64 v[98:99], v[98:99], -v[66:67]
	v_add_f64 v[10:11], v[10:11], v[104:105]
	v_pk_mov_b32 v[132:133], v[8:9], v[8:9] op_sel:[0,1]
	v_add_f64 v[124:125], v[62:63], v[100:101]
	v_add_f64 v[130:131], v[62:63], -v[100:101]
	v_add_f64 v[64:65], v[66:67], -v[64:65]
	;; [unrolled: 1-line block ×3, first 2 shown]
	v_add_f64 v[66:67], v[122:123], v[66:67]
	v_mul_f64 v[58:59], v[58:59], s[14:15]
	v_mul_f64 v[60:61], v[60:61], s[14:15]
	;; [unrolled: 1-line block ×6, first 2 shown]
	v_fmac_f64_e32 v[132:133], s[22:23], v[102:103]
	v_pk_mov_b32 v[102:103], v[10:11], v[10:11] op_sel:[0,1]
	v_add_f64 v[62:63], v[68:69], -v[62:63]
	v_add_f64 v[68:69], v[124:125], v[68:69]
	v_mul_f64 v[124:125], v[130:131], s[20:21]
	v_mul_f64 v[130:131], v[100:101], s[18:19]
	v_fmac_f64_e32 v[102:103], s[22:23], v[104:105]
	v_fma_f64 v[104:105], v[118:119], s[24:25], -v[106:107]
	v_fma_f64 v[106:107], v[120:121], s[24:25], -v[116:117]
	;; [unrolled: 1-line block ×3, first 2 shown]
	v_fmac_f64_e32 v[58:59], s[12:13], v[70:71]
	v_fma_f64 v[70:71], v[120:121], s[26:27], -v[60:61]
	v_fma_f64 v[118:119], v[64:65], s[34:35], -v[128:129]
	v_fmac_f64_e32 v[60:61], s[12:13], v[96:97]
	v_fma_f64 v[96:97], v[100:101], s[18:19], -v[124:125]
	v_fma_f64 v[100:101], v[62:63], s[34:35], -v[130:131]
	v_add_f64 v[70:71], v[70:71], v[102:103]
	v_fmac_f64_e32 v[118:119], s[30:31], v[66:67]
	v_fma_f64 v[98:99], v[98:99], s[18:19], -v[122:123]
	v_fmac_f64_e32 v[122:123], s[28:29], v[64:65]
	v_add_f64 v[128:129], v[60:61], v[102:103]
	v_add_f64 v[106:107], v[106:107], v[102:103]
	;; [unrolled: 1-line block ×3, first 2 shown]
	v_fmac_f64_e32 v[100:101], s[30:31], v[68:69]
	v_add_f64 v[64:65], v[70:71], -v[118:119]
	v_add_f64 v[102:103], v[118:119], v[70:71]
	v_add_f64 v[70:71], v[38:39], v[112:113]
	v_add_f64 v[38:39], v[38:39], -v[112:113]
	v_add_f64 v[112:113], v[42:43], v[188:189]
	v_fmac_f64_e32 v[124:125], s[28:29], v[62:63]
	v_add_f64 v[62:63], v[100:101], v[116:117]
	v_add_f64 v[100:101], v[116:117], -v[100:101]
	v_add_f64 v[116:117], v[40:41], v[114:115]
	v_add_f64 v[40:41], v[40:41], -v[114:115]
	;; [unrolled: 2-line block ×4, first 2 shown]
	v_add_f64 v[50:51], v[112:113], v[70:71]
	v_add_f64 v[118:119], v[48:49], v[52:53]
	v_add_f64 v[48:49], v[52:53], -v[48:49]
	v_add_f64 v[52:53], v[114:115], v[116:117]
	v_add_f64 v[50:51], v[110:111], v[50:51]
	v_add_f64 v[120:121], v[58:59], v[132:133]
	v_add_f64 v[104:105], v[104:105], v[132:133]
	v_fmac_f64_e32 v[122:123], s[30:31], v[66:67]
	v_fmac_f64_e32 v[124:125], s[30:31], v[68:69]
	;; [unrolled: 1-line block ×4, first 2 shown]
	v_add_f64 v[42:43], v[42:43], -v[188:189]
	v_add_f64 v[52:53], v[118:119], v[52:53]
	v_add_f64 v[0:1], v[0:1], v[50:51]
	;; [unrolled: 1-line block ×3, first 2 shown]
	v_add_f64 v[60:61], v[128:129], -v[122:123]
	v_add_f64 v[66:67], v[104:105], -v[96:97]
	v_add_f64 v[68:69], v[98:99], v[106:107]
	v_add_f64 v[96:97], v[96:97], v[104:105]
	v_add_f64 v[98:99], v[106:107], -v[98:99]
	v_add_f64 v[104:105], v[120:121], -v[124:125]
	v_add_f64 v[106:107], v[122:123], v[128:129]
	v_add_f64 v[120:121], v[112:113], -v[70:71]
	v_add_f64 v[122:123], v[114:115], -v[116:117]
	;; [unrolled: 1-line block ×6, first 2 shown]
	v_add_f64 v[124:125], v[46:47], v[42:43]
	v_add_f64 v[128:129], v[48:49], v[44:45]
	v_add_f64 v[130:131], v[46:47], -v[42:43]
	v_add_f64 v[132:133], v[48:49], -v[44:45]
	v_add_f64 v[42:43], v[42:43], -v[38:39]
	v_add_f64 v[44:45], v[44:45], -v[40:41]
	v_add_f64 v[2:3], v[2:3], v[52:53]
	v_pk_mov_b32 v[134:135], v[0:1], v[0:1] op_sel:[0,1]
	v_add_f64 v[46:47], v[38:39], -v[46:47]
	v_add_f64 v[48:49], v[40:41], -v[48:49]
	v_add_f64 v[38:39], v[124:125], v[38:39]
	v_add_f64 v[40:41], v[128:129], v[40:41]
	v_mul_f64 v[70:71], v[70:71], s[14:15]
	v_mul_f64 v[110:111], v[116:117], s[14:15]
	v_mul_f64 v[116:117], v[112:113], s[12:13]
	v_mul_f64 v[118:119], v[114:115], s[12:13]
	v_mul_f64 v[124:125], v[130:131], s[20:21]
	v_mul_f64 v[128:129], v[132:133], s[20:21]
	v_mul_f64 v[130:131], v[42:43], s[18:19]
	v_mul_f64 v[132:133], v[44:45], s[18:19]
	v_fmac_f64_e32 v[134:135], s[22:23], v[50:51]
	v_pk_mov_b32 v[50:51], v[2:3], v[2:3] op_sel:[0,1]
	v_fmac_f64_e32 v[50:51], s[22:23], v[52:53]
	v_fma_f64 v[52:53], s[12:13], v[112:113], v[70:71]
	v_fma_f64 v[112:113], v[120:121], s[24:25], -v[116:117]
	v_fma_f64 v[116:117], v[122:123], s[24:25], -v[118:119]
	;; [unrolled: 1-line block ×4, first 2 shown]
	v_fmac_f64_e32 v[110:111], s[12:13], v[114:115]
	v_fma_f64 v[120:121], s[28:29], v[46:47], v[124:125]
	v_fma_f64 v[114:115], v[42:43], s[18:19], -v[124:125]
	v_fma_f64 v[122:123], v[44:45], s[18:19], -v[128:129]
	v_fmac_f64_e32 v[128:129], s[28:29], v[48:49]
	v_fma_f64 v[124:125], v[46:47], s[34:35], -v[130:131]
	v_fma_f64 v[130:131], v[48:49], s[34:35], -v[132:133]
	v_add_f64 v[132:133], v[52:53], v[134:135]
	v_add_f64 v[136:137], v[110:111], v[50:51]
	;; [unrolled: 1-line block ×6, first 2 shown]
	v_fmac_f64_e32 v[120:121], s[30:31], v[38:39]
	v_fmac_f64_e32 v[128:129], s[30:31], v[40:41]
	;; [unrolled: 1-line block ×6, first 2 shown]
	v_add_f64 v[38:39], v[128:129], v[132:133]
	v_add_f64 v[40:41], v[136:137], -v[120:121]
	v_add_f64 v[42:43], v[130:131], v[70:71]
	v_add_f64 v[44:45], v[112:113], -v[124:125]
	v_add_f64 v[46:47], v[52:53], -v[122:123]
	v_add_f64 v[48:49], v[114:115], v[110:111]
	v_add_f64 v[50:51], v[122:123], v[52:53]
	v_add_f64 v[52:53], v[110:111], -v[114:115]
	v_add_f64 v[110:111], v[70:71], -v[130:131]
	v_add_f64 v[112:113], v[124:125], v[112:113]
	v_add_f64 v[114:115], v[132:133], -v[128:129]
	v_add_f64 v[116:117], v[120:121], v[136:137]
	ds_write_b128 v126, v[4:7]
	ds_write_b128 v126, v[12:15] offset:1456
	ds_write_b128 v126, v[16:19] offset:2912
	ds_write_b128 v126, v[20:23] offset:4368
	ds_write_b128 v126, v[24:27] offset:5824
	ds_write_b128 v126, v[28:31] offset:7280
	ds_write_b128 v126, v[32:35] offset:8736
	ds_write_b128 v126, v[8:11] offset:10192
	ds_write_b128 v126, v[58:61] offset:11648
	ds_write_b128 v126, v[62:65] offset:13104
	ds_write_b128 v126, v[66:69] offset:14560
	ds_write_b128 v126, v[96:99] offset:16016
	ds_write_b128 v126, v[100:103] offset:17472
	ds_write_b128 v126, v[104:107] offset:18928
	ds_write_b128 v153, v[0:3] offset:20384
	ds_write_b128 v153, v[38:41] offset:21840
	ds_write_b128 v153, v[42:45] offset:23296
	ds_write_b128 v153, v[46:49] offset:24752
	ds_write_b128 v153, v[50:53] offset:26208
	ds_write_b128 v153, v[110:113] offset:27664
	ds_write_b128 v153, v[114:117] offset:29120
	v_add_co_u32_e64 v2, s[2:3], s4, v55
	v_addc_co_u32_e64 v3, s[2:3], 0, v54, s[2:3]
	v_add_co_u32_e64 v0, s[2:3], s5, v2
	v_addc_co_u32_e64 v1, s[2:3], 0, v3, s[2:3]
	s_movk_i32 s12, 0x2000
	v_add_co_u32_e64 v2, s[2:3], s12, v2
	v_addc_co_u32_e64 v3, s[2:3], 0, v3, s[2:3]
	s_waitcnt lgkmcnt(0)
	s_barrier
	global_load_dwordx4 v[182:185], v[2:3], off offset:1792
	global_load_dwordx4 v[186:189], v[0:1], off offset:16
	v_lshlrev_b32_e32 v0, 5, v36
	v_add_co_u32_e64 v2, s[2:3], s4, v0
	v_addc_co_u32_e64 v3, s[2:3], 0, v54, s[2:3]
	v_add_co_u32_e64 v0, s[2:3], s5, v2
	v_addc_co_u32_e64 v1, s[2:3], 0, v3, s[2:3]
	;; [unrolled: 2-line block ×3, first 2 shown]
	global_load_dwordx4 v[200:203], v[2:3], off offset:1792
	global_load_dwordx4 v[204:207], v[0:1], off offset:16
	v_lshlrev_b32_e32 v0, 5, v37
	v_add_co_u32_e64 v2, s[2:3], s4, v0
	v_addc_co_u32_e64 v3, s[2:3], 0, v54, s[2:3]
	v_add_co_u32_e64 v0, s[2:3], s5, v2
	v_addc_co_u32_e64 v1, s[2:3], 0, v3, s[2:3]
	v_add_co_u32_e64 v2, s[2:3], s12, v2
	v_addc_co_u32_e64 v3, s[2:3], 0, v3, s[2:3]
	global_load_dwordx4 v[208:211], v[2:3], off offset:1792
	global_load_dwordx4 v[212:215], v[0:1], off offset:16
	v_add_u32_e32 v0, 0x2220, v55
	v_add_co_u32_e64 v2, s[2:3], s4, v0
	v_addc_co_u32_e64 v3, s[2:3], 0, v54, s[2:3]
	v_add_co_u32_e64 v0, s[2:3], s5, v2
	v_addc_co_u32_e64 v1, s[2:3], 0, v3, s[2:3]
	v_add_co_u32_e64 v2, s[2:3], s12, v2
	v_addc_co_u32_e64 v3, s[2:3], 0, v3, s[2:3]
	global_load_dwordx4 v[216:219], v[2:3], off offset:1792
	global_load_dwordx4 v[220:223], v[0:1], off offset:16
	v_add_u32_e32 v0, 0x2d80, v55
	;; [unrolled: 9-line block ×4, first 2 shown]
	v_add_co_u32_e64 v2, s[2:3], s4, v0
	v_addc_co_u32_e64 v3, s[2:3], 0, v54, s[2:3]
	v_add_co_u32_e64 v0, s[2:3], s12, v2
	v_addc_co_u32_e64 v1, s[2:3], 0, v3, s[2:3]
	global_load_dwordx4 v[240:243], v[0:1], off offset:1792
	v_add_co_u32_e64 v0, s[2:3], s5, v2
	v_addc_co_u32_e64 v1, s[2:3], 0, v3, s[2:3]
	global_load_dwordx4 v[244:247], v[0:1], off offset:16
	ds_read_b128 v[0:3], v126 offset:20384
	ds_read_b128 v[4:7], v126 offset:21840
	;; [unrolled: 1-line block ×15, first 2 shown]
	s_waitcnt vmcnt(13) lgkmcnt(4)
	v_mul_f64 v[40:41], v[38:39], v[184:185]
	v_fma_f64 v[96:97], v[36:37], v[182:183], -v[40:41]
	v_mul_f64 v[98:99], v[36:37], v[184:185]
	s_waitcnt vmcnt(12)
	v_mul_f64 v[36:37], v[2:3], v[188:189]
	v_fma_f64 v[100:101], v[0:1], v[186:187], -v[36:37]
	v_mul_f64 v[102:103], v[0:1], v[188:189]
	s_waitcnt vmcnt(11)
	v_mul_f64 v[0:1], v[10:11], v[202:203]
	v_fma_f64 v[104:105], v[8:9], v[200:201], -v[0:1]
	s_waitcnt vmcnt(10)
	v_mul_f64 v[0:1], v[6:7], v[206:207]
	v_fma_f64 v[110:111], v[4:5], v[204:205], -v[0:1]
	v_mul_f64 v[106:107], v[8:9], v[202:203]
	v_fmac_f64_e32 v[98:99], v[38:39], v[182:183]
	v_fmac_f64_e32 v[102:103], v[2:3], v[186:187]
	;; [unrolled: 1-line block ×3, first 2 shown]
	v_mul_f64 v[112:113], v[4:5], v[206:207]
	v_fmac_f64_e32 v[112:113], v[6:7], v[204:205]
	v_add_f64 v[6:7], v[96:97], v[100:101]
	s_mov_b32 s2, 0xe8584caa
	s_mov_b32 s3, 0x3febb67a
	;; [unrolled: 1-line block ×3, first 2 shown]
	s_waitcnt vmcnt(9)
	v_mul_f64 v[0:1], v[14:15], v[210:211]
	v_fma_f64 v[46:47], v[12:13], v[208:209], -v[0:1]
	s_waitcnt vmcnt(8)
	v_mul_f64 v[0:1], v[18:19], v[214:215]
	v_fma_f64 v[52:53], v[16:17], v[212:213], -v[0:1]
	v_mul_f64 v[50:51], v[12:13], v[210:211]
	v_fmac_f64_e32 v[50:51], v[14:15], v[208:209]
	s_mov_b32 s4, s2
	v_mul_f64 v[54:55], v[16:17], v[214:215]
	v_fmac_f64_e32 v[54:55], v[18:19], v[212:213]
	v_add_f64 v[18:19], v[106:107], v[112:113]
	ds_read_b128 v[252:255], v126 offset:5824
	v_accvgpr_write_b32 a92, v144
	v_accvgpr_write_b32 a84, v140
	;; [unrolled: 1-line block ×3, first 2 shown]
	s_waitcnt vmcnt(7)
	v_mul_f64 v[0:1], v[26:27], v[218:219]
	v_fma_f64 v[40:41], v[24:25], v[216:217], -v[0:1]
	s_waitcnt vmcnt(6)
	v_mul_f64 v[0:1], v[22:23], v[222:223]
	v_fma_f64 v[44:45], v[20:21], v[220:221], -v[0:1]
	v_mul_f64 v[48:49], v[20:21], v[222:223]
	v_fmac_f64_e32 v[48:49], v[22:23], v[220:221]
	v_mul_f64 v[42:43], v[24:25], v[218:219]
	v_fmac_f64_e32 v[42:43], v[26:27], v[216:217]
	ds_read_b128 v[24:27], v126 offset:1456
	v_accvgpr_write_b32 a94, v146
	v_accvgpr_write_b32 a95, v147
	;; [unrolled: 1-line block ×5, first 2 shown]
	s_waitcnt vmcnt(5)
	v_mul_f64 v[0:1], v[30:31], v[226:227]
	v_fma_f64 v[8:9], v[28:29], v[224:225], -v[0:1]
	s_waitcnt vmcnt(4)
	v_mul_f64 v[0:1], v[34:35], v[230:231]
	v_fma_f64 v[12:13], v[32:33], v[228:229], -v[0:1]
	v_mul_f64 v[38:39], v[32:33], v[230:231]
	v_fmac_f64_e32 v[38:39], v[34:35], v[228:229]
	v_mul_f64 v[10:11], v[28:29], v[226:227]
	v_fmac_f64_e32 v[10:11], v[30:31], v[224:225]
	s_waitcnt vmcnt(3) lgkmcnt(4)
	v_mul_f64 v[0:1], v[62:63], v[234:235]
	v_fma_f64 v[14:15], v[60:61], v[232:233], -v[0:1]
	s_waitcnt vmcnt(2)
	v_mul_f64 v[0:1], v[58:59], v[238:239]
	v_fma_f64 v[34:35], v[56:57], v[236:237], -v[0:1]
	v_mul_f64 v[20:21], v[60:61], v[234:235]
	v_fmac_f64_e32 v[20:21], v[62:63], v[232:233]
	v_mul_f64 v[36:37], v[56:57], v[238:239]
	v_fmac_f64_e32 v[36:37], v[58:59], v[236:237]
	s_waitcnt vmcnt(1) lgkmcnt(3)
	v_mul_f64 v[0:1], v[66:67], v[242:243]
	v_fma_f64 v[22:23], v[64:65], v[240:241], -v[0:1]
	ds_read_b128 v[0:3], v126
	v_mul_f64 v[28:29], v[64:65], v[242:243]
	v_add_f64 v[64:65], v[104:105], -v[110:111]
	s_waitcnt vmcnt(0) lgkmcnt(3)
	v_mul_f64 v[4:5], v[70:71], v[246:247]
	v_fma_f64 v[30:31], v[68:69], v[244:245], -v[4:5]
	s_waitcnt lgkmcnt(0)
	v_add_f64 v[4:5], v[0:1], v[96:97]
	v_add_f64 v[60:61], v[4:5], v[100:101]
	;; [unrolled: 1-line block ×4, first 2 shown]
	v_fmac_f64_e32 v[0:1], -0.5, v[6:7]
	v_add_f64 v[6:7], v[98:99], -v[102:103]
	v_add_f64 v[4:5], v[98:99], v[102:103]
	ds_write_b128 v126, v[60:63]
	ds_read_b128 v[60:63], v126 offset:2912
	v_fma_f64 v[56:57], s[2:3], v[6:7], v[0:1]
	v_fmac_f64_e32 v[0:1], s[4:5], v[6:7]
	v_fmac_f64_e32 v[2:3], -0.5, v[4:5]
	v_add_f64 v[4:5], v[96:97], -v[100:101]
	v_add_f64 v[6:7], v[104:105], v[110:111]
	v_fma_f64 v[58:59], s[4:5], v[4:5], v[2:3]
	v_fmac_f64_e32 v[2:3], s[2:3], v[4:5]
	v_add_f64 v[4:5], v[24:25], v[104:105]
	v_fmac_f64_e32 v[24:25], -0.5, v[6:7]
	v_add_f64 v[6:7], v[106:107], -v[112:113]
	v_fma_f64 v[16:17], s[2:3], v[6:7], v[24:25]
	v_fmac_f64_e32 v[24:25], s[4:5], v[6:7]
	v_add_f64 v[6:7], v[26:27], v[106:107]
	v_fmac_f64_e32 v[26:27], -0.5, v[18:19]
	v_fma_f64 v[18:19], s[4:5], v[64:65], v[26:27]
	v_fmac_f64_e32 v[26:27], s[2:3], v[64:65]
	ds_write_b128 v126, v[56:59] offset:10192
	ds_read_b128 v[56:59], v126 offset:4368
	v_add_f64 v[64:65], v[46:47], v[52:53]
	v_fmac_f64_e32 v[28:29], v[66:67], v[240:241]
	v_mul_f64 v[32:33], v[68:69], v[246:247]
	s_waitcnt lgkmcnt(2)
	v_add_f64 v[66:67], v[60:61], v[46:47]
	v_fmac_f64_e32 v[60:61], -0.5, v[64:65]
	v_add_f64 v[68:69], v[50:51], -v[54:55]
	v_fma_f64 v[64:65], s[2:3], v[68:69], v[60:61]
	v_fmac_f64_e32 v[60:61], s[4:5], v[68:69]
	v_add_f64 v[68:69], v[66:67], v[52:53]
	v_add_f64 v[66:67], v[62:63], v[50:51]
	;; [unrolled: 1-line block ×3, first 2 shown]
	v_fmac_f64_e32 v[62:63], -0.5, v[50:51]
	v_add_f64 v[46:47], v[46:47], -v[52:53]
	v_fmac_f64_e32 v[32:33], v[70:71], v[244:245]
	v_add_f64 v[70:71], v[66:67], v[54:55]
	v_fma_f64 v[66:67], s[4:5], v[46:47], v[62:63]
	v_fmac_f64_e32 v[62:63], s[2:3], v[46:47]
	v_add_f64 v[46:47], v[40:41], v[44:45]
	s_waitcnt lgkmcnt(0)
	v_add_f64 v[50:51], v[56:57], v[40:41]
	v_fmac_f64_e32 v[56:57], -0.5, v[46:47]
	v_add_f64 v[52:53], v[42:43], -v[48:49]
	v_add_f64 v[4:5], v[4:5], v[110:111]
	v_add_f64 v[6:7], v[6:7], v[112:113]
	v_fma_f64 v[46:47], s[2:3], v[52:53], v[56:57]
	v_fmac_f64_e32 v[56:57], s[4:5], v[52:53]
	v_add_f64 v[52:53], v[58:59], v[42:43]
	v_add_f64 v[42:43], v[42:43], v[48:49]
	v_fmac_f64_e32 v[58:59], -0.5, v[42:43]
	v_add_f64 v[40:41], v[40:41], -v[44:45]
	ds_write_b128 v126, v[0:3] offset:20384
	ds_write_b128 v126, v[4:7] offset:1456
	ds_read_b128 v[4:7], v126 offset:7280
	v_add_f64 v[0:1], v[8:9], v[12:13]
	v_add_f64 v[52:53], v[52:53], v[48:49]
	v_fma_f64 v[48:49], s[4:5], v[40:41], v[58:59]
	v_fmac_f64_e32 v[58:59], s[2:3], v[40:41]
	v_add_f64 v[2:3], v[252:253], v[8:9]
	v_fmac_f64_e32 v[252:253], -0.5, v[0:1]
	v_add_f64 v[40:41], v[10:11], -v[38:39]
	v_fma_f64 v[0:1], s[2:3], v[40:41], v[252:253]
	v_fmac_f64_e32 v[252:253], s[4:5], v[40:41]
	v_add_f64 v[40:41], v[2:3], v[12:13]
	v_add_f64 v[2:3], v[254:255], v[10:11]
	;; [unrolled: 1-line block ×4, first 2 shown]
	v_fmac_f64_e32 v[254:255], -0.5, v[2:3]
	v_add_f64 v[8:9], v[8:9], -v[12:13]
	v_add_f64 v[10:11], v[14:15], v[34:35]
	v_fma_f64 v[2:3], s[4:5], v[8:9], v[254:255]
	v_fmac_f64_e32 v[254:255], s[2:3], v[8:9]
	s_waitcnt lgkmcnt(0)
	v_add_f64 v[8:9], v[4:5], v[14:15]
	v_fmac_f64_e32 v[4:5], -0.5, v[10:11]
	v_add_f64 v[10:11], v[20:21], -v[36:37]
	v_fma_f64 v[12:13], s[2:3], v[10:11], v[4:5]
	v_fmac_f64_e32 v[4:5], s[4:5], v[10:11]
	v_add_f64 v[10:11], v[6:7], v[20:21]
	v_add_f64 v[20:21], v[20:21], v[36:37]
	ds_write_b128 v126, v[16:19] offset:11648
	v_add_f64 v[18:19], v[22:23], v[30:31]
	v_fmac_f64_e32 v[6:7], -0.5, v[20:21]
	v_add_f64 v[20:21], v[14:15], -v[34:35]
	v_add_f64 v[16:17], v[248:249], v[22:23]
	v_fmac_f64_e32 v[248:249], -0.5, v[18:19]
	v_add_f64 v[18:19], v[28:29], -v[32:33]
	v_fma_f64 v[14:15], s[4:5], v[20:21], v[6:7]
	v_fmac_f64_e32 v[6:7], s[2:3], v[20:21]
	v_fma_f64 v[20:21], s[2:3], v[18:19], v[248:249]
	v_fmac_f64_e32 v[248:249], s[4:5], v[18:19]
	v_add_f64 v[18:19], v[250:251], v[28:29]
	v_add_f64 v[28:29], v[28:29], v[32:33]
	v_fmac_f64_e32 v[250:251], -0.5, v[28:29]
	v_add_f64 v[28:29], v[22:23], -v[30:31]
	v_mov_b32_e32 v22, s17
	v_add_f64 v[16:17], v[16:17], v[30:31]
	v_addc_co_u32_e64 v30, s[0:1], 0, v22, s[0:1]
	v_fma_f64 v[22:23], s[4:5], v[28:29], v[250:251]
	s_movk_i32 s4, 0x7000
	v_add_f64 v[50:51], v[50:51], v[44:45]
	v_add_f64 v[8:9], v[8:9], v[34:35]
	;; [unrolled: 1-line block ×4, first 2 shown]
	v_fmac_f64_e32 v[250:251], s[2:3], v[28:29]
	ds_write_b128 v126, v[24:27] offset:21840
	ds_write_b128 v126, v[68:71] offset:2912
	;; [unrolled: 1-line block ×16, first 2 shown]
	v_add_co_u32_e64 v24, s[0:1], s4, v108
	s_movk_i32 s2, 0x7770
	v_addc_co_u32_e64 v25, s[0:1], 0, v30, s[0:1]
	v_add_co_u32_e64 v28, s[0:1], s2, v108
	s_waitcnt lgkmcnt(0)
	s_barrier
	global_load_dwordx4 v[24:27], v[24:25], off offset:1904
	v_addc_co_u32_e64 v29, s[0:1], 0, v30, s[0:1]
	global_load_dwordx4 v[32:35], v[28:29], off offset:2352
	s_mov_b32 s0, 0x8000
	v_add_co_u32_e64 v36, s[0:1], s0, v108
	v_addc_co_u32_e64 v37, s[0:1], 0, v30, s[0:1]
	global_load_dwordx4 v[36:39], v[36:37], off offset:2512
	ds_read_b128 v[40:43], v126
	ds_read_b128 v[44:47], v126 offset:2352
	s_mov_b32 s0, 0x9000
	v_add_co_u32_e64 v56, s[0:1], s0, v108
	v_addc_co_u32_e64 v57, s[0:1], 0, v30, s[0:1]
	s_mov_b32 s0, 0xa000
	s_waitcnt vmcnt(2) lgkmcnt(1)
	v_mul_f64 v[48:49], v[42:43], v[26:27]
	v_mul_f64 v[50:51], v[40:41], v[26:27]
	v_fma_f64 v[48:49], v[40:41], v[24:25], -v[48:49]
	v_fmac_f64_e32 v[50:51], v[42:43], v[24:25]
	s_waitcnt vmcnt(1) lgkmcnt(0)
	v_mul_f64 v[24:25], v[46:47], v[34:35]
	v_mul_f64 v[42:43], v[44:45], v[34:35]
	v_fma_f64 v[40:41], v[44:45], v[32:33], -v[24:25]
	v_fmac_f64_e32 v[42:43], v[46:47], v[32:33]
	ds_read_b128 v[24:27], v126 offset:4704
	ds_read_b128 v[32:35], v126 offset:7056
	global_load_dwordx4 v[44:47], v[56:57], off offset:768
	s_waitcnt vmcnt(1) lgkmcnt(1)
	v_mul_f64 v[52:53], v[26:27], v[38:39]
	v_mul_f64 v[54:55], v[24:25], v[38:39]
	v_fma_f64 v[52:53], v[24:25], v[36:37], -v[52:53]
	v_fmac_f64_e32 v[54:55], v[26:27], v[36:37]
	global_load_dwordx4 v[36:39], v[56:57], off offset:3120
	v_add_co_u32_e64 v24, s[0:1], s0, v108
	v_addc_co_u32_e64 v25, s[0:1], 0, v30, s[0:1]
	global_load_dwordx4 v[56:59], v[24:25], off offset:1376
	global_load_dwordx4 v[60:63], v[24:25], off offset:3728
	s_mov_b32 s0, 0xb000
	v_add_co_u32_e64 v24, s[0:1], s0, v108
	v_addc_co_u32_e64 v25, s[0:1], 0, v30, s[0:1]
	global_load_dwordx4 v[24:27], v[24:25], off offset:1984
	ds_write_b128 v126, v[48:51]
	ds_write_b128 v126, v[40:43] offset:2352
	ds_write_b128 v126, v[52:55] offset:4704
	ds_read_b128 v[40:43], v126 offset:9408
	s_mov_b32 s0, 0xc000
	s_waitcnt vmcnt(4) lgkmcnt(4)
	v_mul_f64 v[48:49], v[34:35], v[46:47]
	v_mul_f64 v[50:51], v[32:33], v[46:47]
	v_fma_f64 v[48:49], v[32:33], v[44:45], -v[48:49]
	v_fmac_f64_e32 v[50:51], v[34:35], v[44:45]
	ds_read_b128 v[32:35], v126 offset:11760
	ds_write_b128 v126, v[48:51] offset:7056
	s_waitcnt vmcnt(3) lgkmcnt(2)
	v_mul_f64 v[44:45], v[42:43], v[38:39]
	v_mul_f64 v[46:47], v[40:41], v[38:39]
	v_fma_f64 v[44:45], v[40:41], v[36:37], -v[44:45]
	v_fmac_f64_e32 v[46:47], v[42:43], v[36:37]
	s_waitcnt vmcnt(2) lgkmcnt(1)
	v_mul_f64 v[40:41], v[34:35], v[58:59]
	v_mul_f64 v[42:43], v[32:33], v[58:59]
	ds_read_b128 v[36:39], v126 offset:14112
	v_fma_f64 v[40:41], v[32:33], v[56:57], -v[40:41]
	v_fmac_f64_e32 v[42:43], v[34:35], v[56:57]
	ds_read_b128 v[32:35], v126 offset:16464
	v_add_co_u32_e64 v56, s[0:1], s0, v108
	v_addc_co_u32_e64 v57, s[0:1], 0, v30, s[0:1]
	s_waitcnt vmcnt(0) lgkmcnt(0)
	v_mul_f64 v[48:49], v[34:35], v[26:27]
	s_mov_b32 s0, 0xd000
	v_mul_f64 v[52:53], v[38:39], v[62:63]
	v_mul_f64 v[54:55], v[36:37], v[62:63]
	v_fma_f64 v[48:49], v[32:33], v[24:25], -v[48:49]
	v_mul_f64 v[50:51], v[32:33], v[26:27]
	v_add_co_u32_e64 v32, s[0:1], s0, v108
	v_fma_f64 v[52:53], v[36:37], v[60:61], -v[52:53]
	v_fmac_f64_e32 v[54:55], v[38:39], v[60:61]
	global_load_dwordx4 v[36:39], v[56:57], off offset:240
	v_addc_co_u32_e64 v33, s[0:1], 0, v30, s[0:1]
	s_mov_b32 s0, 0xe000
	ds_write_b128 v126, v[44:47] offset:9408
	v_add_co_u32_e64 v44, s[0:1], s0, v108
	v_addc_co_u32_e64 v45, s[0:1], 0, v30, s[0:1]
	v_fmac_f64_e32 v[50:51], v[34:35], v[24:25]
	global_load_dwordx4 v[24:27], v[32:33], off offset:848
	ds_write_b128 v126, v[40:43] offset:11760
	global_load_dwordx4 v[44:47], v[44:45], off offset:1456
	ds_read_b128 v[40:43], v126 offset:18816
	global_load_dwordx4 v[32:35], v[32:33], off offset:3200
	s_waitcnt vmcnt(3) lgkmcnt(0)
	v_mul_f64 v[30:31], v[42:43], v[38:39]
	global_load_dwordx4 v[56:59], v[56:57], off offset:2592
	ds_write_b128 v126, v[52:55] offset:14112
	ds_write_b128 v126, v[48:51] offset:16464
	ds_read_b128 v[48:51], v126 offset:21168
	v_mul_f64 v[54:55], v[40:41], v[38:39]
	v_fma_f64 v[52:53], v[40:41], v[36:37], -v[30:31]
	v_fmac_f64_e32 v[54:55], v[42:43], v[36:37]
	ds_read_b128 v[40:43], v126 offset:23520
	ds_write_b128 v126, v[52:55] offset:18816
	s_waitcnt vmcnt(0) lgkmcnt(2)
	v_mul_f64 v[30:31], v[50:51], v[58:59]
	v_mul_f64 v[38:39], v[48:49], v[58:59]
	v_fma_f64 v[36:37], v[48:49], v[56:57], -v[30:31]
	v_fmac_f64_e32 v[38:39], v[50:51], v[56:57]
	ds_write_b128 v126, v[36:39] offset:21168
	ds_read_b128 v[36:39], v126 offset:25872
	s_waitcnt lgkmcnt(3)
	v_mul_f64 v[30:31], v[42:43], v[26:27]
	v_mul_f64 v[50:51], v[40:41], v[26:27]
	v_fma_f64 v[48:49], v[40:41], v[24:25], -v[30:31]
	v_fmac_f64_e32 v[50:51], v[42:43], v[24:25]
	ds_read_b128 v[24:27], v126 offset:28224
	s_waitcnt lgkmcnt(1)
	v_mul_f64 v[30:31], v[38:39], v[34:35]
	v_mul_f64 v[42:43], v[36:37], v[34:35]
	v_fma_f64 v[40:41], v[36:37], v[32:33], -v[30:31]
	v_fmac_f64_e32 v[42:43], v[38:39], v[32:33]
	s_waitcnt lgkmcnt(0)
	v_mul_f64 v[30:31], v[26:27], v[46:47]
	v_mul_f64 v[32:33], v[24:25], v[46:47]
	v_fma_f64 v[30:31], v[24:25], v[44:45], -v[30:31]
	v_fmac_f64_e32 v[32:33], v[26:27], v[44:45]
	ds_write_b128 v126, v[48:51] offset:23520
	ds_write_b128 v126, v[40:43] offset:25872
	;; [unrolled: 1-line block ×3, first 2 shown]
	s_and_saveexec_b64 s[2:3], vcc
	s_cbranch_execz .LBB0_9
; %bb.8:
	global_load_dwordx4 v[30:33], v[28:29], off offset:1456
	ds_read_b128 v[24:27], v126 offset:1456
	s_movk_i32 s0, 0x1000
	s_waitcnt vmcnt(0) lgkmcnt(0)
	v_mul_f64 v[34:35], v[26:27], v[32:33]
	v_mul_f64 v[36:37], v[24:25], v[32:33]
	v_fma_f64 v[34:35], v[24:25], v[30:31], -v[34:35]
	v_fmac_f64_e32 v[36:37], v[26:27], v[30:31]
	global_load_dwordx4 v[30:33], v[28:29], off offset:3808
	ds_read_b128 v[24:27], v126 offset:3808
	ds_write_b128 v126, v[34:37] offset:1456
	s_waitcnt vmcnt(0) lgkmcnt(1)
	v_mul_f64 v[34:35], v[26:27], v[32:33]
	v_mul_f64 v[36:37], v[24:25], v[32:33]
	v_fma_f64 v[34:35], v[24:25], v[30:31], -v[34:35]
	v_fmac_f64_e32 v[36:37], v[26:27], v[30:31]
	v_add_co_u32_e64 v30, s[0:1], s0, v28
	v_addc_co_u32_e64 v31, s[0:1], 0, v29, s[0:1]
	global_load_dwordx4 v[30:33], v[30:31], off offset:2064
	ds_read_b128 v[24:27], v126 offset:6160
	v_add_co_u32_e64 v38, s[0:1], s12, v28
	ds_write_b128 v126, v[34:37] offset:3808
	v_addc_co_u32_e64 v39, s[0:1], 0, v29, s[0:1]
	s_movk_i32 s0, 0x3000
	s_waitcnt vmcnt(0) lgkmcnt(1)
	v_mul_f64 v[34:35], v[26:27], v[32:33]
	v_mul_f64 v[36:37], v[24:25], v[32:33]
	v_fma_f64 v[34:35], v[24:25], v[30:31], -v[34:35]
	v_fmac_f64_e32 v[36:37], v[26:27], v[30:31]
	global_load_dwordx4 v[30:33], v[38:39], off offset:320
	ds_read_b128 v[24:27], v126 offset:8512
	ds_write_b128 v126, v[34:37] offset:6160
	s_waitcnt vmcnt(0) lgkmcnt(1)
	v_mul_f64 v[34:35], v[26:27], v[32:33]
	v_mul_f64 v[36:37], v[24:25], v[32:33]
	v_fma_f64 v[34:35], v[24:25], v[30:31], -v[34:35]
	v_fmac_f64_e32 v[36:37], v[26:27], v[30:31]
	global_load_dwordx4 v[30:33], v[38:39], off offset:2672
	ds_read_b128 v[24:27], v126 offset:10864
	v_add_co_u32_e64 v38, s[0:1], s0, v28
	ds_write_b128 v126, v[34:37] offset:8512
	v_addc_co_u32_e64 v39, s[0:1], 0, v29, s[0:1]
	s_movk_i32 s0, 0x4000
	s_waitcnt vmcnt(0) lgkmcnt(1)
	v_mul_f64 v[34:35], v[26:27], v[32:33]
	v_mul_f64 v[36:37], v[24:25], v[32:33]
	v_fma_f64 v[34:35], v[24:25], v[30:31], -v[34:35]
	v_fmac_f64_e32 v[36:37], v[26:27], v[30:31]
	global_load_dwordx4 v[30:33], v[38:39], off offset:928
	ds_read_b128 v[24:27], v126 offset:13216
	ds_write_b128 v126, v[34:37] offset:10864
	s_waitcnt vmcnt(0) lgkmcnt(1)
	v_mul_f64 v[34:35], v[26:27], v[32:33]
	v_mul_f64 v[36:37], v[24:25], v[32:33]
	v_fma_f64 v[34:35], v[24:25], v[30:31], -v[34:35]
	v_fmac_f64_e32 v[36:37], v[26:27], v[30:31]
	;; [unrolled: 19-line block ×3, first 2 shown]
	global_load_dwordx4 v[30:33], v[38:39], off offset:3888
	ds_read_b128 v[24:27], v126 offset:20272
	ds_write_b128 v126, v[34:37] offset:17920
	s_waitcnt vmcnt(0) lgkmcnt(1)
	v_mul_f64 v[34:35], v[26:27], v[32:33]
	v_mul_f64 v[36:37], v[24:25], v[32:33]
	v_fma_f64 v[34:35], v[24:25], v[30:31], -v[34:35]
	v_fmac_f64_e32 v[36:37], v[26:27], v[30:31]
	v_add_co_u32_e64 v30, s[0:1], s0, v28
	v_addc_co_u32_e64 v31, s[0:1], 0, v29, s[0:1]
	global_load_dwordx4 v[30:33], v[30:31], off offset:2144
	ds_read_b128 v[24:27], v126 offset:22624
	s_movk_i32 s0, 0x6000
	v_add_co_u32_e64 v38, s[0:1], s0, v28
	ds_write_b128 v126, v[34:37] offset:20272
	v_addc_co_u32_e64 v39, s[0:1], 0, v29, s[0:1]
	v_add_co_u32_e64 v28, s[0:1], s4, v28
	v_addc_co_u32_e64 v29, s[0:1], 0, v29, s[0:1]
	s_waitcnt vmcnt(0) lgkmcnt(1)
	v_mul_f64 v[34:35], v[26:27], v[32:33]
	v_mul_f64 v[36:37], v[24:25], v[32:33]
	v_fma_f64 v[34:35], v[24:25], v[30:31], -v[34:35]
	v_fmac_f64_e32 v[36:37], v[26:27], v[30:31]
	global_load_dwordx4 v[30:33], v[38:39], off offset:400
	ds_read_b128 v[24:27], v126 offset:24976
	ds_write_b128 v126, v[34:37] offset:22624
	s_waitcnt vmcnt(0) lgkmcnt(1)
	v_mul_f64 v[34:35], v[26:27], v[32:33]
	v_mul_f64 v[36:37], v[24:25], v[32:33]
	v_fma_f64 v[34:35], v[24:25], v[30:31], -v[34:35]
	v_fmac_f64_e32 v[36:37], v[26:27], v[30:31]
	global_load_dwordx4 v[30:33], v[38:39], off offset:2752
	ds_read_b128 v[24:27], v126 offset:27328
	ds_write_b128 v126, v[34:37] offset:24976
	;; [unrolled: 8-line block ×3, first 2 shown]
	s_waitcnt vmcnt(0) lgkmcnt(1)
	v_mul_f64 v[32:33], v[26:27], v[30:31]
	v_mul_f64 v[34:35], v[24:25], v[30:31]
	v_fma_f64 v[32:33], v[24:25], v[28:29], -v[32:33]
	v_fmac_f64_e32 v[34:35], v[26:27], v[28:29]
	ds_write_b128 v126, v[32:35] offset:29680
.LBB0_9:
	s_or_b64 exec, exec, s[2:3]
	s_waitcnt lgkmcnt(0)
	s_barrier
	ds_read_b128 v[64:67], v126
	ds_read_b128 v[96:99], v126 offset:2352
	ds_read_b128 v[60:63], v126 offset:4704
	;; [unrolled: 1-line block ×12, first 2 shown]
	s_and_saveexec_b64 s[0:1], vcc
	s_cbranch_execz .LBB0_11
; %bb.10:
	ds_read_b128 v[0:3], v126 offset:1456
	ds_read_b128 v[252:255], v126 offset:3808
	;; [unrolled: 1-line block ×13, first 2 shown]
.LBB0_11:
	s_or_b64 exec, exec, s[0:1]
	s_waitcnt lgkmcnt(11)
	v_add_f64 v[56:57], v[64:65], v[96:97]
	v_add_f64 v[58:59], v[66:67], v[98:99]
	s_waitcnt lgkmcnt(10)
	v_add_f64 v[56:57], v[56:57], v[60:61]
	v_add_f64 v[58:59], v[58:59], v[62:63]
	;; [unrolled: 3-line block ×9, first 2 shown]
	s_waitcnt lgkmcnt(2)
	v_add_f64 v[56:57], v[56:57], v[52:53]
	s_mov_b32 s4, 0x4267c47c
	s_mov_b32 s14, 0x42a4c3d2
	;; [unrolled: 1-line block ×6, first 2 shown]
	v_add_f64 v[58:59], v[58:59], v[54:55]
	s_waitcnt lgkmcnt(1)
	v_add_f64 v[56:57], v[56:57], v[68:69]
	s_waitcnt lgkmcnt(0)
	v_add_f64 v[106:107], v[98:99], v[102:103]
	v_add_f64 v[98:99], v[98:99], -v[102:103]
	s_mov_b32 s5, 0xbfddbe06
	s_mov_b32 s0, 0xe00740e9
	;; [unrolled: 1-line block ×12, first 2 shown]
	v_add_f64 v[58:59], v[58:59], v[70:71]
	v_add_f64 v[56:57], v[56:57], v[100:101]
	;; [unrolled: 1-line block ×3, first 2 shown]
	v_add_f64 v[96:97], v[96:97], -v[100:101]
	v_mul_f64 v[100:101], v[98:99], s[4:5]
	s_mov_b32 s1, 0x3fec55a7
	v_mul_f64 v[114:115], v[98:99], s[14:15]
	s_mov_b32 s3, 0x3fe22d96
	;; [unrolled: 2-line block ×6, first 2 shown]
	v_add_f64 v[58:59], v[58:59], v[102:103]
	v_fma_f64 v[102:103], s[0:1], v[104:105], v[100:101]
	v_fma_f64 v[100:101], v[104:105], s[0:1], -v[100:101]
	v_fma_f64 v[116:117], s[2:3], v[104:105], v[114:115]
	v_fma_f64 v[114:115], v[104:105], s[2:3], -v[114:115]
	;; [unrolled: 2-line block ×6, first 2 shown]
	v_add_f64 v[102:103], v[64:65], v[102:103]
	v_mul_f64 v[110:111], v[106:107], s[0:1]
	s_mov_b32 s25, 0x3fddbe06
	s_mov_b32 s24, s4
	v_add_f64 v[100:101], v[64:65], v[100:101]
	v_add_f64 v[116:117], v[64:65], v[116:117]
	v_mul_f64 v[118:119], v[106:107], s[2:3]
	s_mov_b32 s41, 0x3fea55e2
	s_mov_b32 s40, s14
	v_add_f64 v[114:115], v[64:65], v[114:115]
	;; [unrolled: 5-line block ×6, first 2 shown]
	v_add_f64 v[98:99], v[62:63], v[70:71]
	v_add_f64 v[62:63], v[62:63], -v[70:71]
	v_fma_f64 v[112:113], s[24:25], v[96:97], v[110:111]
	v_fmac_f64_e32 v[110:111], s[4:5], v[96:97]
	v_fma_f64 v[120:121], s[40:41], v[96:97], v[118:119]
	v_fmac_f64_e32 v[118:119], s[14:15], v[96:97]
	;; [unrolled: 2-line block ×6, first 2 shown]
	v_add_f64 v[96:97], v[60:61], v[68:69]
	v_add_f64 v[60:61], v[60:61], -v[68:69]
	v_mul_f64 v[68:69], v[62:63], s[14:15]
	v_fma_f64 v[70:71], s[2:3], v[96:97], v[68:69]
	v_add_f64 v[70:71], v[70:71], v[102:103]
	v_mul_f64 v[102:103], v[98:99], s[2:3]
	v_add_f64 v[110:111], v[66:67], v[110:111]
	v_fma_f64 v[104:105], s[40:41], v[60:61], v[102:103]
	v_fma_f64 v[68:69], v[96:97], s[2:3], -v[68:69]
	v_fmac_f64_e32 v[102:103], s[14:15], v[60:61]
	v_add_f64 v[68:69], v[68:69], v[100:101]
	v_add_f64 v[100:101], v[102:103], v[110:111]
	v_mul_f64 v[102:103], v[62:63], s[22:23]
	v_add_f64 v[112:113], v[66:67], v[112:113]
	v_add_f64 v[120:121], v[66:67], v[120:121]
	;; [unrolled: 1-line block ×11, first 2 shown]
	v_fma_f64 v[106:107], s[16:17], v[96:97], v[102:103]
	v_mul_f64 v[110:111], v[98:99], s[16:17]
	v_fma_f64 v[102:103], v[96:97], s[16:17], -v[102:103]
	v_add_f64 v[104:105], v[104:105], v[112:113]
	v_fma_f64 v[112:113], s[38:39], v[60:61], v[110:111]
	v_add_f64 v[102:103], v[102:103], v[114:115]
	v_fmac_f64_e32 v[110:111], s[22:23], v[60:61]
	v_mul_f64 v[114:115], v[62:63], s[30:31]
	v_add_f64 v[106:107], v[106:107], v[116:117]
	v_add_f64 v[110:111], v[110:111], v[118:119]
	v_fma_f64 v[116:117], s[26:27], v[96:97], v[114:115]
	v_mul_f64 v[118:119], v[98:99], s[26:27]
	v_fma_f64 v[114:115], v[96:97], s[26:27], -v[114:115]
	v_add_f64 v[112:113], v[112:113], v[120:121]
	v_fma_f64 v[120:121], s[42:43], v[60:61], v[118:119]
	v_add_f64 v[114:115], v[114:115], v[122:123]
	v_fmac_f64_e32 v[118:119], s[30:31], v[60:61]
	v_mul_f64 v[122:123], v[62:63], s[36:37]
	v_add_f64 v[116:117], v[116:117], v[124:125]
	v_add_f64 v[118:119], v[118:119], v[128:129]
	;; [unrolled: 10-line block ×3, first 2 shown]
	v_fma_f64 v[134:135], s[12:13], v[96:97], v[132:133]
	v_mul_f64 v[136:137], v[98:99], s[12:13]
	v_mul_f64 v[98:99], v[98:99], s[0:1]
	v_add_f64 v[134:135], v[134:135], v[142:143]
	v_fma_f64 v[132:133], v[96:97], s[12:13], -v[132:133]
	v_mul_f64 v[62:63], v[62:63], s[24:25]
	v_fma_f64 v[142:143], s[4:5], v[60:61], v[98:99]
	v_fmac_f64_e32 v[98:99], s[24:25], v[60:61]
	v_add_f64 v[130:131], v[130:131], v[138:139]
	v_fma_f64 v[138:139], s[18:19], v[60:61], v[136:137]
	v_add_f64 v[132:133], v[132:133], v[140:141]
	v_fmac_f64_e32 v[136:137], s[34:35], v[60:61]
	v_fma_f64 v[140:141], s[0:1], v[96:97], v[62:63]
	v_fma_f64 v[62:63], v[96:97], s[0:1], -v[62:63]
	v_add_f64 v[60:61], v[98:99], v[66:67]
	v_add_f64 v[66:67], v[50:51], v[54:55]
	v_add_f64 v[50:51], v[50:51], -v[54:55]
	v_add_f64 v[62:63], v[62:63], v[64:65]
	v_add_f64 v[64:65], v[48:49], v[52:53]
	v_add_f64 v[48:49], v[48:49], -v[52:53]
	v_mul_f64 v[52:53], v[50:51], s[18:19]
	v_fma_f64 v[54:55], s[12:13], v[64:65], v[52:53]
	v_add_f64 v[54:55], v[54:55], v[70:71]
	v_mul_f64 v[70:71], v[66:67], s[12:13]
	v_fma_f64 v[96:97], s[34:35], v[48:49], v[70:71]
	v_fma_f64 v[52:53], v[64:65], s[12:13], -v[52:53]
	v_fmac_f64_e32 v[70:71], s[18:19], v[48:49]
	v_add_f64 v[52:53], v[52:53], v[68:69]
	v_add_f64 v[68:69], v[70:71], v[100:101]
	v_mul_f64 v[70:71], v[50:51], s[30:31]
	v_fma_f64 v[98:99], s[26:27], v[64:65], v[70:71]
	v_fma_f64 v[70:71], v[64:65], s[26:27], -v[70:71]
	v_mul_f64 v[100:101], v[66:67], s[26:27]
	v_add_f64 v[70:71], v[70:71], v[102:103]
	v_mul_f64 v[102:103], v[50:51], s[38:39]
	v_add_f64 v[96:97], v[96:97], v[104:105]
	v_add_f64 v[98:99], v[98:99], v[106:107]
	v_fma_f64 v[104:105], s[42:43], v[48:49], v[100:101]
	v_fmac_f64_e32 v[100:101], s[30:31], v[48:49]
	v_fma_f64 v[106:107], s[16:17], v[64:65], v[102:103]
	v_fma_f64 v[102:103], v[64:65], s[16:17], -v[102:103]
	v_add_f64 v[100:101], v[100:101], v[110:111]
	v_mul_f64 v[110:111], v[66:67], s[16:17]
	v_add_f64 v[102:103], v[102:103], v[114:115]
	v_mul_f64 v[114:115], v[50:51], s[24:25]
	v_add_f64 v[104:105], v[104:105], v[112:113]
	v_add_f64 v[106:107], v[106:107], v[116:117]
	v_fma_f64 v[112:113], s[22:23], v[48:49], v[110:111]
	v_fmac_f64_e32 v[110:111], s[38:39], v[48:49]
	v_fma_f64 v[116:117], s[0:1], v[64:65], v[114:115]
	v_fma_f64 v[114:115], v[64:65], s[0:1], -v[114:115]
	v_add_f64 v[110:111], v[110:111], v[118:119]
	v_mul_f64 v[118:119], v[66:67], s[0:1]
	v_add_f64 v[114:115], v[114:115], v[122:123]
	v_mul_f64 v[122:123], v[50:51], s[14:15]
	v_add_f64 v[112:113], v[112:113], v[120:121]
	v_add_f64 v[116:117], v[116:117], v[124:125]
	v_fma_f64 v[120:121], s[4:5], v[48:49], v[118:119]
	v_fmac_f64_e32 v[118:119], s[24:25], v[48:49]
	v_fma_f64 v[124:125], s[2:3], v[64:65], v[122:123]
	v_fma_f64 v[122:123], v[64:65], s[2:3], -v[122:123]
	v_mul_f64 v[50:51], v[50:51], s[28:29]
	v_add_f64 v[118:119], v[118:119], v[128:129]
	v_mul_f64 v[128:129], v[66:67], s[2:3]
	v_add_f64 v[122:123], v[122:123], v[132:133]
	v_fma_f64 v[132:133], s[20:21], v[64:65], v[50:51]
	v_mul_f64 v[66:67], v[66:67], s[20:21]
	v_fma_f64 v[50:51], v[64:65], s[20:21], -v[50:51]
	v_add_f64 v[124:125], v[124:125], v[134:135]
	v_fma_f64 v[134:135], s[36:37], v[48:49], v[66:67]
	v_add_f64 v[50:51], v[50:51], v[62:63]
	v_fmac_f64_e32 v[66:67], s[28:29], v[48:49]
	v_add_f64 v[62:63], v[42:43], v[46:47]
	v_add_f64 v[42:43], v[42:43], -v[46:47]
	v_add_f64 v[120:121], v[120:121], v[130:131]
	v_fma_f64 v[130:131], s[40:41], v[48:49], v[128:129]
	v_fmac_f64_e32 v[128:129], s[14:15], v[48:49]
	v_add_f64 v[48:49], v[66:67], v[60:61]
	v_add_f64 v[60:61], v[40:41], v[44:45]
	v_add_f64 v[40:41], v[40:41], -v[44:45]
	v_mul_f64 v[44:45], v[42:43], s[22:23]
	v_fma_f64 v[46:47], s[16:17], v[60:61], v[44:45]
	v_add_f64 v[46:47], v[46:47], v[54:55]
	v_mul_f64 v[54:55], v[62:63], s[16:17]
	v_fma_f64 v[64:65], s[38:39], v[40:41], v[54:55]
	v_fma_f64 v[44:45], v[60:61], s[16:17], -v[44:45]
	v_fmac_f64_e32 v[54:55], s[22:23], v[40:41]
	v_add_f64 v[44:45], v[44:45], v[52:53]
	v_add_f64 v[52:53], v[54:55], v[68:69]
	v_mul_f64 v[54:55], v[42:43], s[36:37]
	v_fma_f64 v[66:67], s[20:21], v[60:61], v[54:55]
	v_fma_f64 v[54:55], v[60:61], s[20:21], -v[54:55]
	v_mul_f64 v[68:69], v[62:63], s[20:21]
	v_add_f64 v[54:55], v[54:55], v[70:71]
	v_mul_f64 v[70:71], v[42:43], s[24:25]
	v_add_f64 v[64:65], v[64:65], v[96:97]
	v_add_f64 v[66:67], v[66:67], v[98:99]
	v_fma_f64 v[96:97], s[28:29], v[40:41], v[68:69]
	v_fmac_f64_e32 v[68:69], s[36:37], v[40:41]
	v_fma_f64 v[98:99], s[0:1], v[60:61], v[70:71]
	v_fma_f64 v[70:71], v[60:61], s[0:1], -v[70:71]
	v_add_f64 v[68:69], v[68:69], v[100:101]
	v_mul_f64 v[100:101], v[62:63], s[0:1]
	v_add_f64 v[70:71], v[70:71], v[102:103]
	v_mul_f64 v[102:103], v[42:43], s[18:19]
	v_add_f64 v[96:97], v[96:97], v[104:105]
	v_add_f64 v[98:99], v[98:99], v[106:107]
	v_fma_f64 v[104:105], s[4:5], v[40:41], v[100:101]
	v_fmac_f64_e32 v[100:101], s[24:25], v[40:41]
	v_fma_f64 v[106:107], s[12:13], v[60:61], v[102:103]
	v_fma_f64 v[102:103], v[60:61], s[12:13], -v[102:103]
	v_add_f64 v[100:101], v[100:101], v[110:111]
	v_mul_f64 v[110:111], v[62:63], s[12:13]
	v_add_f64 v[102:103], v[102:103], v[114:115]
	v_mul_f64 v[114:115], v[42:43], s[42:43]
	v_add_f64 v[104:105], v[104:105], v[112:113]
	v_add_f64 v[106:107], v[106:107], v[116:117]
	v_fma_f64 v[112:113], s[34:35], v[40:41], v[110:111]
	v_fmac_f64_e32 v[110:111], s[18:19], v[40:41]
	v_fma_f64 v[116:117], s[26:27], v[60:61], v[114:115]
	v_fma_f64 v[114:115], v[60:61], s[26:27], -v[114:115]
	v_mul_f64 v[42:43], v[42:43], s[40:41]
	v_add_f64 v[110:111], v[110:111], v[118:119]
	v_mul_f64 v[118:119], v[62:63], s[26:27]
	v_add_f64 v[114:115], v[114:115], v[122:123]
	v_fma_f64 v[122:123], s[2:3], v[60:61], v[42:43]
	v_mul_f64 v[62:63], v[62:63], s[2:3]
	v_fma_f64 v[42:43], v[60:61], s[2:3], -v[42:43]
	v_add_f64 v[116:117], v[116:117], v[124:125]
	v_fma_f64 v[124:125], s[14:15], v[40:41], v[62:63]
	v_add_f64 v[42:43], v[42:43], v[50:51]
	v_fmac_f64_e32 v[62:63], s[40:41], v[40:41]
	v_add_f64 v[50:51], v[34:35], v[38:39]
	v_add_f64 v[34:35], v[34:35], -v[38:39]
	v_add_f64 v[112:113], v[112:113], v[120:121]
	v_fma_f64 v[120:121], s[30:31], v[40:41], v[118:119]
	v_fmac_f64_e32 v[118:119], s[42:43], v[40:41]
	v_add_f64 v[40:41], v[62:63], v[48:49]
	v_add_f64 v[48:49], v[32:33], v[36:37]
	v_add_f64 v[32:33], v[32:33], -v[36:37]
	v_mul_f64 v[36:37], v[34:35], s[28:29]
	v_fma_f64 v[38:39], s[20:21], v[48:49], v[36:37]
	v_add_f64 v[38:39], v[38:39], v[46:47]
	v_mul_f64 v[46:47], v[50:51], s[20:21]
	v_fma_f64 v[60:61], s[36:37], v[32:33], v[46:47]
	v_fma_f64 v[36:37], v[48:49], s[20:21], -v[36:37]
	v_fmac_f64_e32 v[46:47], s[28:29], v[32:33]
	v_add_f64 v[36:37], v[36:37], v[44:45]
	v_add_f64 v[44:45], v[46:47], v[52:53]
	v_mul_f64 v[46:47], v[34:35], s[34:35]
	v_mul_f64 v[62:63], v[50:51], s[12:13]
	v_add_f64 v[60:61], v[60:61], v[64:65]
	v_fma_f64 v[52:53], s[12:13], v[48:49], v[46:47]
	v_fma_f64 v[64:65], s[18:19], v[32:33], v[62:63]
	v_fma_f64 v[46:47], v[48:49], s[12:13], -v[46:47]
	v_fmac_f64_e32 v[62:63], s[34:35], v[32:33]
	v_add_f64 v[46:47], v[46:47], v[54:55]
	v_add_f64 v[54:55], v[62:63], v[68:69]
	v_mul_f64 v[62:63], v[34:35], s[14:15]
	v_add_f64 v[52:53], v[52:53], v[66:67]
	v_fma_f64 v[66:67], s[2:3], v[48:49], v[62:63]
	v_fma_f64 v[62:63], v[48:49], s[2:3], -v[62:63]
	v_mul_f64 v[68:69], v[50:51], s[2:3]
	v_add_f64 v[62:63], v[62:63], v[70:71]
	v_mul_f64 v[70:71], v[34:35], s[42:43]
	v_add_f64 v[64:65], v[64:65], v[96:97]
	v_add_f64 v[66:67], v[66:67], v[98:99]
	v_fma_f64 v[96:97], s[40:41], v[32:33], v[68:69]
	v_fmac_f64_e32 v[68:69], s[14:15], v[32:33]
	v_fma_f64 v[98:99], s[26:27], v[48:49], v[70:71]
	v_fma_f64 v[70:71], v[48:49], s[26:27], -v[70:71]
	v_add_f64 v[138:139], v[138:139], v[146:147]
	v_add_f64 v[140:141], v[140:141], v[148:149]
	;; [unrolled: 1-line block ×3, first 2 shown]
	v_mul_f64 v[100:101], v[50:51], s[26:27]
	v_add_f64 v[70:71], v[70:71], v[102:103]
	v_mul_f64 v[102:103], v[34:35], s[24:25]
	v_add_f64 v[136:137], v[136:137], v[144:145]
	v_add_f64 v[142:143], v[142:143], v[150:151]
	;; [unrolled: 1-line block ×6, first 2 shown]
	v_fma_f64 v[104:105], s[30:31], v[32:33], v[100:101]
	v_fmac_f64_e32 v[100:101], s[42:43], v[32:33]
	v_fma_f64 v[106:107], s[0:1], v[48:49], v[102:103]
	v_fma_f64 v[102:103], v[48:49], s[0:1], -v[102:103]
	v_mul_f64 v[34:35], v[34:35], s[22:23]
	v_add_f64 v[128:129], v[128:129], v[136:137]
	v_add_f64 v[134:135], v[134:135], v[142:143]
	v_add_f64 v[120:121], v[120:121], v[130:131]
	v_add_f64 v[122:123], v[122:123], v[132:133]
	v_add_f64 v[100:101], v[100:101], v[110:111]
	v_mul_f64 v[110:111], v[50:51], s[0:1]
	v_add_f64 v[102:103], v[102:103], v[114:115]
	v_fma_f64 v[114:115], s[16:17], v[48:49], v[34:35]
	v_mul_f64 v[50:51], v[50:51], s[16:17]
	v_add_f64 v[130:131], v[26:27], -v[30:31]
	v_add_f64 v[118:119], v[118:119], v[128:129]
	v_add_f64 v[124:125], v[124:125], v[134:135]
	;; [unrolled: 1-line block ×4, first 2 shown]
	v_fma_f64 v[116:117], s[38:39], v[32:33], v[50:51]
	v_add_f64 v[122:123], v[24:25], v[28:29]
	v_add_f64 v[128:129], v[24:25], -v[28:29]
	v_mul_f64 v[28:29], v[130:131], s[30:31]
	v_add_f64 v[116:117], v[116:117], v[124:125]
	v_add_f64 v[124:125], v[26:27], v[30:31]
	v_fma_f64 v[24:25], s[26:27], v[122:123], v[28:29]
	v_fma_f64 v[28:29], v[122:123], s[26:27], -v[28:29]
	v_mul_f64 v[30:31], v[124:125], s[26:27]
	v_add_f64 v[28:29], v[28:29], v[36:37]
	v_mul_f64 v[36:37], v[130:131], s[24:25]
	v_add_f64 v[104:105], v[104:105], v[112:113]
	v_fma_f64 v[112:113], s[4:5], v[32:33], v[110:111]
	v_fmac_f64_e32 v[110:111], s[24:25], v[32:33]
	v_fmac_f64_e32 v[50:51], s[22:23], v[32:33]
	v_fma_f64 v[26:27], s[42:43], v[128:129], v[30:31]
	v_fmac_f64_e32 v[30:31], s[30:31], v[128:129]
	v_fma_f64 v[32:33], s[0:1], v[122:123], v[36:37]
	v_fma_f64 v[36:37], v[122:123], s[0:1], -v[36:37]
	v_fma_f64 v[34:35], v[48:49], s[16:17], -v[34:35]
	v_add_f64 v[24:25], v[24:25], v[38:39]
	v_add_f64 v[30:31], v[30:31], v[44:45]
	;; [unrolled: 1-line block ×3, first 2 shown]
	v_mul_f64 v[38:39], v[124:125], s[0:1]
	v_add_f64 v[36:37], v[36:37], v[46:47]
	v_mul_f64 v[44:45], v[130:131], s[28:29]
	v_mul_f64 v[46:47], v[124:125], s[20:21]
	;; [unrolled: 1-line block ×3, first 2 shown]
	v_add_f64 v[112:113], v[112:113], v[120:121]
	v_add_f64 v[110:111], v[110:111], v[118:119]
	;; [unrolled: 1-line block ×4, first 2 shown]
	v_fma_f64 v[34:35], s[4:5], v[128:129], v[38:39]
	v_fmac_f64_e32 v[38:39], s[24:25], v[128:129]
	v_fma_f64 v[40:41], s[20:21], v[122:123], v[44:45]
	v_fma_f64 v[42:43], s[36:37], v[128:129], v[46:47]
	;; [unrolled: 1-line block ×3, first 2 shown]
	v_add_f64 v[34:35], v[34:35], v[64:65]
	v_add_f64 v[38:39], v[38:39], v[54:55]
	;; [unrolled: 1-line block ×4, first 2 shown]
	v_fma_f64 v[44:45], v[122:123], s[20:21], -v[44:45]
	v_fmac_f64_e32 v[46:47], s[28:29], v[128:129]
	v_add_f64 v[48:49], v[48:49], v[98:99]
	v_mul_f64 v[54:55], v[124:125], s[2:3]
	v_fma_f64 v[52:53], v[122:123], s[2:3], -v[52:53]
	v_mul_f64 v[64:65], v[130:131], s[22:23]
	v_mul_f64 v[66:67], v[124:125], s[16:17]
	v_mul_f64 v[96:97], v[130:131], s[34:35]
	v_mul_f64 v[98:99], v[124:125], s[12:13]
	v_add_f64 v[26:27], v[26:27], v[60:61]
	v_add_f64 v[44:45], v[44:45], v[62:63]
	;; [unrolled: 1-line block ×3, first 2 shown]
	v_fma_f64 v[50:51], s[14:15], v[128:129], v[54:55]
	v_add_f64 v[52:53], v[52:53], v[70:71]
	v_fmac_f64_e32 v[54:55], s[40:41], v[128:129]
	v_fma_f64 v[60:61], s[16:17], v[122:123], v[64:65]
	v_fma_f64 v[62:63], s[38:39], v[128:129], v[66:67]
	v_fma_f64 v[64:65], v[122:123], s[16:17], -v[64:65]
	v_fmac_f64_e32 v[66:67], s[22:23], v[128:129]
	v_fma_f64 v[68:69], s[12:13], v[122:123], v[96:97]
	v_fma_f64 v[70:71], s[18:19], v[128:129], v[98:99]
	v_fma_f64 v[96:97], v[122:123], s[12:13], -v[96:97]
	v_fmac_f64_e32 v[98:99], s[34:35], v[128:129]
	v_add_f64 v[50:51], v[50:51], v[104:105]
	v_add_f64 v[54:55], v[54:55], v[100:101]
	;; [unrolled: 1-line block ×10, first 2 shown]
	s_barrier
	ds_write_b128 v127, v[56:59]
	ds_write_b128 v127, v[24:27] offset:16
	ds_write_b128 v127, v[32:35] offset:32
	;; [unrolled: 1-line block ×12, first 2 shown]
	s_and_saveexec_b64 s[44:45], vcc
	s_cbranch_execz .LBB0_13
; %bb.12:
	v_accvgpr_write_b32 a148, v186
	v_accvgpr_write_b32 a80, v178
	;; [unrolled: 1-line block ×5, first 2 shown]
	v_accvgpr_read_b32 v189, a75
	v_accvgpr_write_b32 a76, v174
	v_accvgpr_write_b32 a81, v179
	;; [unrolled: 1-line block ×4, first 2 shown]
	v_accvgpr_read_b32 v181, a67
	v_accvgpr_read_b32 v188, a74
	;; [unrolled: 1-line block ×4, first 2 shown]
	v_accvgpr_write_b32 a72, v170
	v_accvgpr_write_b32 a77, v175
	;; [unrolled: 1-line block ×4, first 2 shown]
	v_accvgpr_read_b32 v177, a63
	v_accvgpr_read_b32 v179, a65
	;; [unrolled: 1-line block ×3, first 2 shown]
	v_accvgpr_write_b32 a144, v182
	v_accvgpr_write_b32 a73, v171
	;; [unrolled: 1-line block ×4, first 2 shown]
	v_accvgpr_read_b32 v173, a59
	v_accvgpr_read_b32 v175, a61
	;; [unrolled: 1-line block ×4, first 2 shown]
	v_add_f64 v[112:113], v[252:253], -v[178:179]
	v_accvgpr_write_b32 a145, v183
	v_accvgpr_write_b32 a146, v184
	v_accvgpr_write_b32 a147, v185
	v_accvgpr_read_b32 v185, a71
	v_accvgpr_read_b32 v171, a57
	;; [unrolled: 1-line block ×4, first 2 shown]
	v_add_f64 v[106:107], v[8:9], -v[174:175]
	v_mul_f64 v[44:45], v[112:113], s[30:31]
	v_add_f64 v[62:63], v[254:255], v[180:181]
	v_add_f64 v[124:125], v[254:255], -v[180:181]
	v_accvgpr_read_b32 v183, a69
	v_accvgpr_read_b32 v182, a68
	;; [unrolled: 1-line block ×3, first 2 shown]
	v_add_f64 v[104:105], v[12:13], -v[170:171]
	v_mul_f64 v[40:41], v[106:107], s[24:25]
	v_add_f64 v[60:61], v[10:11], v[176:177]
	v_fma_f64 v[46:47], s[26:27], v[62:63], v[44:45]
	v_add_f64 v[122:123], v[10:11], -v[176:177]
	v_add_f64 v[98:99], v[252:253], v[178:179]
	v_mul_f64 v[134:135], v[124:125], s[30:31]
	v_accvgpr_read_b32 v184, a70
	v_add_f64 v[110:111], v[4:5], -v[182:183]
	v_mul_f64 v[36:37], v[104:105], s[28:29]
	v_add_f64 v[58:59], v[14:15], v[172:173]
	v_fma_f64 v[42:43], s[0:1], v[60:61], v[40:41]
	v_add_f64 v[46:47], v[2:3], v[46:47]
	v_add_f64 v[120:121], v[14:15], -v[172:173]
	v_add_f64 v[96:97], v[8:9], v[174:175]
	v_mul_f64 v[130:131], v[122:123], s[24:25]
	v_fma_f64 v[136:137], v[98:99], s[26:27], -v[134:135]
	v_add_f64 v[102:103], v[16:17], -v[186:187]
	v_mul_f64 v[32:33], v[110:111], s[40:41]
	v_add_f64 v[56:57], v[6:7], v[184:185]
	v_fma_f64 v[38:39], s[20:21], v[58:59], v[36:37]
	v_add_f64 v[42:43], v[42:43], v[46:47]
	v_add_f64 v[118:119], v[6:7], -v[184:185]
	v_add_f64 v[70:71], v[12:13], v[170:171]
	v_mul_f64 v[50:51], v[120:121], s[28:29]
	v_fma_f64 v[132:133], v[96:97], s[0:1], -v[130:131]
	v_add_f64 v[136:137], v[0:1], v[136:137]
	v_add_f64 v[100:101], v[20:21], -v[248:249]
	v_mul_f64 v[30:31], v[102:103], s[22:23]
	v_add_f64 v[54:55], v[18:19], v[188:189]
	v_fma_f64 v[34:35], s[2:3], v[56:57], v[32:33]
	v_add_f64 v[38:39], v[38:39], v[42:43]
	v_add_f64 v[116:117], v[18:19], -v[188:189]
	v_add_f64 v[68:69], v[4:5], v[182:183]
	v_mul_f64 v[46:47], v[118:119], s[40:41]
	v_fma_f64 v[128:129], v[70:71], s[20:21], -v[50:51]
	v_add_f64 v[132:133], v[132:133], v[136:137]
	v_mul_f64 v[28:29], v[100:101], s[34:35]
	v_add_f64 v[52:53], v[22:23], v[250:251]
	v_fma_f64 v[26:27], s[16:17], v[54:55], v[30:31]
	v_add_f64 v[34:35], v[34:35], v[38:39]
	v_add_f64 v[114:115], v[22:23], -v[250:251]
	v_add_f64 v[66:67], v[16:17], v[186:187]
	v_mul_f64 v[38:39], v[116:117], s[22:23]
	v_fma_f64 v[48:49], v[68:69], s[2:3], -v[46:47]
	v_add_f64 v[128:129], v[128:129], v[132:133]
	v_fma_f64 v[24:25], s[12:13], v[52:53], v[28:29]
	v_add_f64 v[26:27], v[26:27], v[34:35]
	v_add_f64 v[64:65], v[20:21], v[248:249]
	v_mul_f64 v[34:35], v[114:115], s[34:35]
	v_fma_f64 v[42:43], v[66:67], s[16:17], -v[38:39]
	v_add_f64 v[48:49], v[48:49], v[128:129]
	v_add_f64 v[26:27], v[24:25], v[26:27]
	v_fma_f64 v[24:25], v[64:65], s[12:13], -v[34:35]
	v_add_f64 v[42:43], v[42:43], v[48:49]
	v_add_f64 v[24:25], v[24:25], v[42:43]
	v_fma_f64 v[42:43], v[62:63], s[26:27], -v[44:45]
	v_fma_f64 v[40:41], v[60:61], s[0:1], -v[40:41]
	v_add_f64 v[42:43], v[2:3], v[42:43]
	v_fma_f64 v[36:37], v[58:59], s[20:21], -v[36:37]
	v_add_f64 v[40:41], v[40:41], v[42:43]
	;; [unrolled: 2-line block ×5, first 2 shown]
	v_fmac_f64_e32 v[134:135], s[26:27], v[98:99]
	v_add_f64 v[30:31], v[28:29], v[30:31]
	v_fmac_f64_e32 v[130:131], s[0:1], v[96:97]
	v_add_f64 v[28:29], v[0:1], v[134:135]
	v_mul_f64 v[128:129], v[112:113], s[28:29]
	v_fmac_f64_e32 v[50:51], s[20:21], v[70:71]
	v_add_f64 v[28:29], v[130:131], v[28:29]
	v_mul_f64 v[48:49], v[106:107], s[34:35]
	v_fma_f64 v[130:131], s[20:21], v[62:63], v[128:129]
	v_mul_f64 v[142:143], v[124:125], s[28:29]
	v_fmac_f64_e32 v[46:47], s[2:3], v[68:69]
	v_add_f64 v[28:29], v[50:51], v[28:29]
	v_mul_f64 v[44:45], v[104:105], s[14:15]
	v_fma_f64 v[50:51], s[12:13], v[60:61], v[48:49]
	v_add_f64 v[130:131], v[2:3], v[130:131]
	v_mul_f64 v[138:139], v[122:123], s[34:35]
	v_fma_f64 v[144:145], v[98:99], s[20:21], -v[142:143]
	v_fmac_f64_e32 v[38:39], s[16:17], v[66:67]
	v_add_f64 v[28:29], v[46:47], v[28:29]
	v_mul_f64 v[40:41], v[110:111], s[42:43]
	v_fma_f64 v[46:47], s[2:3], v[58:59], v[44:45]
	v_add_f64 v[50:51], v[50:51], v[130:131]
	v_mul_f64 v[134:135], v[120:121], s[14:15]
	v_fma_f64 v[140:141], v[96:97], s[12:13], -v[138:139]
	v_add_f64 v[144:145], v[0:1], v[144:145]
	v_fmac_f64_e32 v[34:35], s[12:13], v[64:65]
	v_add_f64 v[28:29], v[38:39], v[28:29]
	v_mul_f64 v[38:39], v[102:103], s[24:25]
	v_fma_f64 v[42:43], s[26:27], v[56:57], v[40:41]
	v_add_f64 v[46:47], v[46:47], v[50:51]
	v_mul_f64 v[130:131], v[118:119], s[42:43]
	v_fma_f64 v[136:137], v[70:71], s[2:3], -v[134:135]
	v_add_f64 v[140:141], v[140:141], v[144:145]
	v_add_f64 v[28:29], v[34:35], v[28:29]
	v_mul_f64 v[36:37], v[100:101], s[22:23]
	v_fma_f64 v[34:35], s[0:1], v[54:55], v[38:39]
	v_add_f64 v[42:43], v[42:43], v[46:47]
	v_mul_f64 v[46:47], v[116:117], s[24:25]
	v_fma_f64 v[132:133], v[68:69], s[26:27], -v[130:131]
	v_add_f64 v[136:137], v[136:137], v[140:141]
	v_fma_f64 v[32:33], s[16:17], v[52:53], v[36:37]
	v_add_f64 v[34:35], v[34:35], v[42:43]
	v_mul_f64 v[42:43], v[114:115], s[22:23]
	v_fma_f64 v[50:51], v[66:67], s[0:1], -v[46:47]
	v_add_f64 v[132:133], v[132:133], v[136:137]
	v_add_f64 v[34:35], v[32:33], v[34:35]
	v_fma_f64 v[32:33], v[64:65], s[16:17], -v[42:43]
	v_add_f64 v[50:51], v[50:51], v[132:133]
	v_add_f64 v[32:33], v[32:33], v[50:51]
	v_fma_f64 v[50:51], v[62:63], s[20:21], -v[128:129]
	v_fma_f64 v[48:49], v[60:61], s[12:13], -v[48:49]
	v_add_f64 v[50:51], v[2:3], v[50:51]
	v_fma_f64 v[44:45], v[58:59], s[2:3], -v[44:45]
	v_add_f64 v[48:49], v[48:49], v[50:51]
	;; [unrolled: 2-line block ×5, first 2 shown]
	v_fmac_f64_e32 v[142:143], s[20:21], v[98:99]
	v_add_f64 v[38:39], v[36:37], v[38:39]
	v_fmac_f64_e32 v[138:139], s[12:13], v[96:97]
	v_add_f64 v[36:37], v[0:1], v[142:143]
	v_mul_f64 v[136:137], v[112:113], s[22:23]
	v_fmac_f64_e32 v[134:135], s[2:3], v[70:71]
	v_add_f64 v[36:37], v[138:139], v[36:37]
	v_mul_f64 v[132:133], v[106:107], s[36:37]
	v_fma_f64 v[138:139], s[16:17], v[62:63], v[136:137]
	v_mul_f64 v[150:151], v[124:125], s[22:23]
	v_fmac_f64_e32 v[130:131], s[26:27], v[68:69]
	v_add_f64 v[36:37], v[134:135], v[36:37]
	v_mul_f64 v[128:129], v[104:105], s[24:25]
	v_fma_f64 v[134:135], s[20:21], v[60:61], v[132:133]
	v_add_f64 v[138:139], v[2:3], v[138:139]
	v_mul_f64 v[146:147], v[122:123], s[36:37]
	v_mov_b32_e32 v127, v152
	v_accvgpr_write_b32 a3, v153
	v_fma_f64 v[152:153], v[98:99], s[16:17], -v[150:151]
	v_fmac_f64_e32 v[46:47], s[0:1], v[66:67]
	v_add_f64 v[36:37], v[130:131], v[36:37]
	v_mul_f64 v[48:49], v[110:111], s[18:19]
	v_fma_f64 v[130:131], s[0:1], v[58:59], v[128:129]
	v_add_f64 v[134:135], v[134:135], v[138:139]
	v_mul_f64 v[142:143], v[120:121], s[24:25]
	v_fma_f64 v[148:149], v[96:97], s[20:21], -v[146:147]
	v_add_f64 v[152:153], v[0:1], v[152:153]
	v_fmac_f64_e32 v[42:43], s[16:17], v[64:65]
	v_add_f64 v[36:37], v[46:47], v[36:37]
	v_mul_f64 v[46:47], v[102:103], s[42:43]
	v_fma_f64 v[50:51], s[12:13], v[56:57], v[48:49]
	v_add_f64 v[130:131], v[130:131], v[134:135]
	v_mul_f64 v[138:139], v[118:119], s[18:19]
	v_fma_f64 v[144:145], v[70:71], s[0:1], -v[142:143]
	v_add_f64 v[148:149], v[148:149], v[152:153]
	v_add_f64 v[36:37], v[42:43], v[36:37]
	v_mul_f64 v[44:45], v[100:101], s[40:41]
	v_fma_f64 v[42:43], s[26:27], v[54:55], v[46:47]
	v_add_f64 v[50:51], v[50:51], v[130:131]
	v_mul_f64 v[130:131], v[116:117], s[42:43]
	v_fma_f64 v[140:141], v[68:69], s[12:13], -v[138:139]
	v_add_f64 v[144:145], v[144:145], v[148:149]
	v_fma_f64 v[40:41], s[2:3], v[52:53], v[44:45]
	v_add_f64 v[42:43], v[42:43], v[50:51]
	v_mul_f64 v[50:51], v[114:115], s[40:41]
	v_fma_f64 v[134:135], v[66:67], s[26:27], -v[130:131]
	v_add_f64 v[140:141], v[140:141], v[144:145]
	v_add_f64 v[42:43], v[40:41], v[42:43]
	v_fma_f64 v[40:41], v[64:65], s[2:3], -v[50:51]
	v_add_f64 v[134:135], v[134:135], v[140:141]
	v_add_f64 v[40:41], v[40:41], v[134:135]
	v_fma_f64 v[134:135], v[62:63], s[16:17], -v[136:137]
	v_fma_f64 v[132:133], v[60:61], s[20:21], -v[132:133]
	v_add_f64 v[134:135], v[2:3], v[134:135]
	v_fma_f64 v[128:129], v[58:59], s[0:1], -v[128:129]
	v_add_f64 v[132:133], v[132:133], v[134:135]
	;; [unrolled: 2-line block ×5, first 2 shown]
	v_fmac_f64_e32 v[150:151], s[16:17], v[98:99]
	v_add_f64 v[46:47], v[44:45], v[46:47]
	v_fmac_f64_e32 v[146:147], s[20:21], v[96:97]
	v_add_f64 v[44:45], v[0:1], v[150:151]
	v_mul_f64 v[144:145], v[112:113], s[18:19]
	v_accvgpr_write_b32 a60, v158
	v_fmac_f64_e32 v[142:143], s[0:1], v[70:71]
	v_add_f64 v[44:45], v[146:147], v[44:45]
	v_mul_f64 v[140:141], v[106:107], s[30:31]
	v_fma_f64 v[146:147], s[12:13], v[62:63], v[144:145]
	v_accvgpr_write_b32 a56, v154
	v_accvgpr_write_b32 a61, v159
	;; [unrolled: 1-line block ×4, first 2 shown]
	v_mul_f64 v[158:159], v[124:125], s[18:19]
	v_fmac_f64_e32 v[138:139], s[12:13], v[68:69]
	v_add_f64 v[44:45], v[142:143], v[44:45]
	v_mul_f64 v[136:137], v[104:105], s[38:39]
	v_fma_f64 v[142:143], s[26:27], v[60:61], v[140:141]
	v_add_f64 v[146:147], v[2:3], v[146:147]
	v_accvgpr_write_b32 a57, v155
	v_accvgpr_write_b32 a58, v156
	;; [unrolled: 1-line block ×3, first 2 shown]
	v_mul_f64 v[154:155], v[122:123], s[30:31]
	v_fma_f64 v[160:161], v[98:99], s[12:13], -v[158:159]
	v_fmac_f64_e32 v[130:131], s[26:27], v[66:67]
	v_add_f64 v[44:45], v[138:139], v[44:45]
	v_mul_f64 v[132:133], v[110:111], s[24:25]
	v_fma_f64 v[138:139], s[16:17], v[58:59], v[136:137]
	v_add_f64 v[142:143], v[142:143], v[146:147]
	v_mul_f64 v[150:151], v[120:121], s[38:39]
	v_fma_f64 v[156:157], v[96:97], s[26:27], -v[154:155]
	v_add_f64 v[160:161], v[0:1], v[160:161]
	v_fmac_f64_e32 v[50:51], s[2:3], v[64:65]
	v_add_f64 v[44:45], v[130:131], v[44:45]
	v_mul_f64 v[130:131], v[102:103], s[14:15]
	v_fma_f64 v[134:135], s[0:1], v[56:57], v[132:133]
	v_add_f64 v[138:139], v[138:139], v[142:143]
	v_mul_f64 v[146:147], v[118:119], s[24:25]
	v_fma_f64 v[152:153], v[70:71], s[16:17], -v[150:151]
	v_add_f64 v[156:157], v[156:157], v[160:161]
	v_add_f64 v[44:45], v[50:51], v[44:45]
	v_mul_f64 v[128:129], v[100:101], s[28:29]
	v_fma_f64 v[50:51], s[2:3], v[54:55], v[130:131]
	v_add_f64 v[134:135], v[134:135], v[138:139]
	v_mul_f64 v[138:139], v[116:117], s[14:15]
	v_fma_f64 v[148:149], v[68:69], s[0:1], -v[146:147]
	v_add_f64 v[152:153], v[152:153], v[156:157]
	v_fma_f64 v[48:49], s[20:21], v[52:53], v[128:129]
	v_add_f64 v[50:51], v[50:51], v[134:135]
	v_mul_f64 v[134:135], v[114:115], s[28:29]
	v_fma_f64 v[142:143], v[66:67], s[2:3], -v[138:139]
	v_add_f64 v[148:149], v[148:149], v[152:153]
	v_add_f64 v[50:51], v[48:49], v[50:51]
	v_fma_f64 v[48:49], v[64:65], s[20:21], -v[134:135]
	v_add_f64 v[142:143], v[142:143], v[148:149]
	v_add_f64 v[48:49], v[48:49], v[142:143]
	v_fma_f64 v[142:143], v[62:63], s[12:13], -v[144:145]
	v_fma_f64 v[140:141], v[60:61], s[26:27], -v[140:141]
	v_add_f64 v[142:143], v[2:3], v[142:143]
	v_fma_f64 v[136:137], v[58:59], s[16:17], -v[136:137]
	v_add_f64 v[140:141], v[140:141], v[142:143]
	;; [unrolled: 2-line block ×5, first 2 shown]
	v_fmac_f64_e32 v[158:159], s[12:13], v[98:99]
	v_add_f64 v[130:131], v[128:129], v[130:131]
	v_fmac_f64_e32 v[154:155], s[26:27], v[96:97]
	v_add_f64 v[128:129], v[0:1], v[158:159]
	v_mul_f64 v[152:153], v[112:113], s[14:15]
	v_accvgpr_write_b32 a68, v166
	v_fmac_f64_e32 v[150:151], s[16:17], v[70:71]
	v_add_f64 v[128:129], v[154:155], v[128:129]
	v_mul_f64 v[148:149], v[106:107], s[22:23]
	v_fma_f64 v[154:155], s[2:3], v[62:63], v[152:153]
	v_accvgpr_write_b32 a64, v162
	v_accvgpr_write_b32 a69, v167
	;; [unrolled: 1-line block ×4, first 2 shown]
	v_mul_f64 v[166:167], v[124:125], s[14:15]
	v_fmac_f64_e32 v[146:147], s[0:1], v[68:69]
	v_add_f64 v[128:129], v[150:151], v[128:129]
	v_mul_f64 v[144:145], v[104:105], s[30:31]
	v_fma_f64 v[150:151], s[16:17], v[60:61], v[148:149]
	v_add_f64 v[154:155], v[2:3], v[154:155]
	v_accvgpr_write_b32 a65, v163
	v_accvgpr_write_b32 a66, v164
	;; [unrolled: 1-line block ×3, first 2 shown]
	v_mul_f64 v[162:163], v[122:123], s[22:23]
	v_fma_f64 v[168:169], v[98:99], s[2:3], -v[166:167]
	v_fmac_f64_e32 v[138:139], s[2:3], v[66:67]
	v_add_f64 v[128:129], v[146:147], v[128:129]
	v_mul_f64 v[140:141], v[110:111], s[36:37]
	v_fma_f64 v[146:147], s[26:27], v[58:59], v[144:145]
	v_add_f64 v[150:151], v[150:151], v[154:155]
	v_mul_f64 v[158:159], v[120:121], s[30:31]
	v_fma_f64 v[164:165], v[96:97], s[16:17], -v[162:163]
	v_add_f64 v[168:169], v[0:1], v[168:169]
	v_fmac_f64_e32 v[134:135], s[20:21], v[64:65]
	v_add_f64 v[128:129], v[138:139], v[128:129]
	v_mul_f64 v[138:139], v[102:103], s[34:35]
	v_fma_f64 v[142:143], s[20:21], v[56:57], v[140:141]
	v_add_f64 v[146:147], v[146:147], v[150:151]
	v_mul_f64 v[154:155], v[118:119], s[36:37]
	v_fma_f64 v[160:161], v[70:71], s[26:27], -v[158:159]
	v_add_f64 v[164:165], v[164:165], v[168:169]
	v_add_f64 v[128:129], v[134:135], v[128:129]
	v_mul_f64 v[136:137], v[100:101], s[24:25]
	v_fma_f64 v[134:135], s[12:13], v[54:55], v[138:139]
	v_add_f64 v[142:143], v[142:143], v[146:147]
	v_mul_f64 v[146:147], v[116:117], s[34:35]
	v_fma_f64 v[156:157], v[68:69], s[20:21], -v[154:155]
	v_add_f64 v[160:161], v[160:161], v[164:165]
	v_fma_f64 v[132:133], s[0:1], v[52:53], v[136:137]
	v_add_f64 v[134:135], v[134:135], v[142:143]
	v_mul_f64 v[142:143], v[114:115], s[24:25]
	v_fma_f64 v[150:151], v[66:67], s[12:13], -v[146:147]
	v_add_f64 v[156:157], v[156:157], v[160:161]
	v_add_f64 v[134:135], v[132:133], v[134:135]
	v_fma_f64 v[132:133], v[64:65], s[0:1], -v[142:143]
	v_add_f64 v[150:151], v[150:151], v[156:157]
	v_add_f64 v[132:133], v[132:133], v[150:151]
	v_fma_f64 v[150:151], v[62:63], s[2:3], -v[152:153]
	v_fma_f64 v[148:149], v[60:61], s[16:17], -v[148:149]
	v_add_f64 v[150:151], v[2:3], v[150:151]
	v_fma_f64 v[144:145], v[58:59], s[26:27], -v[144:145]
	v_add_f64 v[148:149], v[148:149], v[150:151]
	;; [unrolled: 2-line block ×5, first 2 shown]
	v_fmac_f64_e32 v[166:167], s[2:3], v[98:99]
	v_add_f64 v[138:139], v[136:137], v[138:139]
	v_fmac_f64_e32 v[162:163], s[16:17], v[96:97]
	v_add_f64 v[136:137], v[0:1], v[166:167]
	;; [unrolled: 2-line block ×3, first 2 shown]
	v_mul_f64 v[112:113], v[112:113], s[4:5]
	v_fmac_f64_e32 v[154:155], s[20:21], v[68:69]
	v_add_f64 v[136:137], v[158:159], v[136:137]
	v_mul_f64 v[106:107], v[106:107], s[14:15]
	v_fma_f64 v[150:151], s[0:1], v[62:63], v[112:113]
	v_fma_f64 v[62:63], v[62:63], s[0:1], -v[112:113]
	v_fmac_f64_e32 v[146:147], s[12:13], v[66:67]
	v_add_f64 v[136:137], v[154:155], v[136:137]
	v_mul_f64 v[104:105], v[104:105], s[18:19]
	v_fma_f64 v[148:149], s[2:3], v[60:61], v[106:107]
	v_fma_f64 v[60:61], v[60:61], s[2:3], -v[106:107]
	v_add_f64 v[62:63], v[2:3], v[62:63]
	v_fmac_f64_e32 v[142:143], s[0:1], v[64:65]
	v_add_f64 v[136:137], v[146:147], v[136:137]
	v_mul_f64 v[110:111], v[110:111], s[22:23]
	v_fma_f64 v[146:147], s[12:13], v[58:59], v[104:105]
	v_fma_f64 v[58:59], v[58:59], s[12:13], -v[104:105]
	v_add_f64 v[60:61], v[60:61], v[62:63]
	v_add_f64 v[136:137], v[142:143], v[136:137]
	v_mul_f64 v[142:143], v[102:103], s[28:29]
	v_fma_f64 v[144:145], s[16:17], v[56:57], v[110:111]
	v_fma_f64 v[56:57], v[56:57], s[16:17], -v[110:111]
	v_add_f64 v[58:59], v[58:59], v[60:61]
	v_mul_f64 v[140:141], v[100:101], s[30:31]
	v_fma_f64 v[102:103], s[20:21], v[54:55], v[142:143]
	v_mul_f64 v[124:125], v[124:125], s[4:5]
	v_fma_f64 v[54:55], v[54:55], s[20:21], -v[142:143]
	v_add_f64 v[56:57], v[56:57], v[58:59]
	v_fma_f64 v[100:101], s[26:27], v[52:53], v[140:141]
	v_fma_f64 v[152:153], v[98:99], s[0:1], -v[124:125]
	v_fma_f64 v[52:53], v[52:53], s[26:27], -v[140:141]
	v_add_f64 v[54:55], v[54:55], v[56:57]
	v_fmac_f64_e32 v[124:125], s[0:1], v[98:99]
	v_add_f64 v[150:151], v[2:3], v[150:151]
	v_add_f64 v[152:153], v[0:1], v[152:153]
	;; [unrolled: 1-line block ×18, first 2 shown]
	v_mul_f64 v[122:123], v[122:123], s[14:15]
	v_add_f64 v[2:3], v[2:3], v[188:189]
	v_add_f64 v[0:1], v[0:1], v[186:187]
	;; [unrolled: 1-line block ×3, first 2 shown]
	v_mul_f64 v[120:121], v[120:121], s[18:19]
	v_fma_f64 v[150:151], v[96:97], s[2:3], -v[122:123]
	v_fmac_f64_e32 v[122:123], s[2:3], v[96:97]
	v_add_f64 v[2:3], v[2:3], v[184:185]
	v_add_f64 v[0:1], v[0:1], v[182:183]
	;; [unrolled: 1-line block ×3, first 2 shown]
	v_mul_f64 v[118:119], v[118:119], s[22:23]
	v_fma_f64 v[148:149], v[70:71], s[12:13], -v[120:121]
	v_add_f64 v[150:151], v[150:151], v[152:153]
	v_fmac_f64_e32 v[120:121], s[12:13], v[70:71]
	v_add_f64 v[52:53], v[122:123], v[52:53]
	v_add_f64 v[2:3], v[2:3], v[172:173]
	;; [unrolled: 1-line block ×4, first 2 shown]
	v_mul_f64 v[116:117], v[116:117], s[28:29]
	v_fma_f64 v[146:147], v[68:69], s[16:17], -v[118:119]
	v_add_f64 v[148:149], v[148:149], v[150:151]
	v_fmac_f64_e32 v[118:119], s[16:17], v[68:69]
	v_add_f64 v[52:53], v[120:121], v[52:53]
	v_add_f64 v[2:3], v[2:3], v[176:177]
	;; [unrolled: 1-line block ×3, first 2 shown]
	v_accvgpr_read_b32 v169, a71
	v_accvgpr_read_b32 v165, a67
	v_accvgpr_read_b32 v161, a63
	v_accvgpr_read_b32 v157, a59
	v_add_f64 v[102:103], v[102:103], v[144:145]
	v_mul_f64 v[114:115], v[114:115], s[30:31]
	v_fma_f64 v[144:145], v[66:67], s[20:21], -v[116:117]
	v_add_f64 v[146:147], v[146:147], v[148:149]
	v_fmac_f64_e32 v[116:117], s[20:21], v[66:67]
	v_add_f64 v[52:53], v[118:119], v[52:53]
	v_add_f64 v[2:3], v[2:3], v[180:181]
	v_accvgpr_read_b32 v189, a151
	v_accvgpr_read_b32 v185, a147
	;; [unrolled: 1-line block ×4, first 2 shown]
	v_add_f64 v[0:1], v[0:1], v[178:179]
	v_accvgpr_read_b32 v181, a83
	v_accvgpr_read_b32 v4, a1
	;; [unrolled: 1-line block ×14, first 2 shown]
	v_add_f64 v[102:103], v[100:101], v[102:103]
	v_fma_f64 v[100:101], v[64:65], s[26:27], -v[114:115]
	v_accvgpr_read_b32 v153, a3
	v_mov_b32_e32 v152, v127
	v_add_f64 v[144:145], v[144:145], v[146:147]
	v_fmac_f64_e32 v[114:115], s[26:27], v[64:65]
	v_add_f64 v[52:53], v[116:117], v[52:53]
	v_accvgpr_read_b32 v188, a150
	v_accvgpr_read_b32 v187, a149
	;; [unrolled: 1-line block ×15, first 2 shown]
	v_lshlrev_b32_e32 v4, 4, v4
	v_add_f64 v[100:101], v[100:101], v[144:145]
	v_add_f64 v[52:53], v[114:115], v[52:53]
	ds_write_b128 v4, v[0:3]
	ds_write_b128 v4, v[52:55] offset:16
	ds_write_b128 v4, v[136:139] offset:32
	;; [unrolled: 1-line block ×12, first 2 shown]
.LBB0_13:
	s_or_b64 exec, exec, s[44:45]
	s_waitcnt lgkmcnt(0)
	s_barrier
	ds_read_b128 v[4:7], v126 offset:4368
	ds_read_b128 v[0:3], v126 offset:2912
	;; [unrolled: 1-line block ×3, first 2 shown]
	v_accvgpr_read_b32 v12, a88
	v_accvgpr_read_b32 v14, a90
	;; [unrolled: 1-line block ×4, first 2 shown]
	s_waitcnt lgkmcnt(2)
	v_mul_f64 v[104:105], v[14:15], v[6:7]
	v_fmac_f64_e32 v[104:105], v[12:13], v[4:5]
	v_mul_f64 v[4:5], v[14:15], v[4:5]
	v_fma_f64 v[106:107], v[12:13], v[6:7], -v[4:5]
	ds_read_b128 v[4:7], v126 offset:10192
	s_waitcnt lgkmcnt(1)
	v_mul_f64 v[110:111], v[180:181], v[10:11]
	v_fmac_f64_e32 v[110:111], v[178:179], v[8:9]
	v_mul_f64 v[8:9], v[180:181], v[8:9]
	v_fma_f64 v[116:117], v[178:179], v[10:11], -v[8:9]
	ds_read_b128 v[8:11], v126 offset:13104
	ds_read_b128 v[12:15], v126 offset:11648
	v_accvgpr_read_b32 v24, a100
	v_accvgpr_read_b32 v26, a102
	v_accvgpr_read_b32 v27, a103
	s_waitcnt lgkmcnt(1)
	v_mul_f64 v[118:119], v[176:177], v[10:11]
	v_fmac_f64_e32 v[118:119], v[174:175], v[8:9]
	v_mul_f64 v[8:9], v[176:177], v[8:9]
	v_fma_f64 v[120:121], v[174:175], v[10:11], -v[8:9]
	ds_read_b128 v[8:11], v126 offset:17472
	ds_read_b128 v[16:19], v126 offset:18928
	v_accvgpr_read_b32 v25, a101
	v_accvgpr_read_b32 v28, a96
	v_accvgpr_read_b32 v30, a98
	;; [unrolled: 10-line block ×4, first 2 shown]
	s_waitcnt lgkmcnt(1)
	v_mul_f64 v[132:133], v[30:31], v[10:11]
	v_fmac_f64_e32 v[132:133], v[28:29], v[8:9]
	v_mul_f64 v[8:9], v[30:31], v[8:9]
	v_fma_f64 v[134:135], v[28:29], v[10:11], -v[8:9]
	ds_read_b128 v[8:11], v126 offset:5824
	ds_read_b128 v[28:31], v126 offset:7280
	v_mul_f64 v[64:65], v[194:195], v[14:15]
	v_fmac_f64_e32 v[64:65], v[192:193], v[12:13]
	s_mov_b32 s0, 0xaaaaaaaa
	s_waitcnt lgkmcnt(1)
	v_mul_f64 v[36:37], v[34:35], v[10:11]
	v_fmac_f64_e32 v[36:37], v[32:33], v[8:9]
	v_mul_f64 v[8:9], v[34:35], v[8:9]
	v_fma_f64 v[38:39], v[32:33], v[10:11], -v[8:9]
	v_accvgpr_read_b32 v8, a112
	v_accvgpr_read_b32 v10, a114
	;; [unrolled: 1-line block ×4, first 2 shown]
	v_mul_f64 v[40:41], v[10:11], v[6:7]
	v_fmac_f64_e32 v[40:41], v[8:9], v[4:5]
	v_mul_f64 v[4:5], v[10:11], v[4:5]
	v_fma_f64 v[42:43], v[8:9], v[6:7], -v[4:5]
	ds_read_b128 v[4:7], v126 offset:14560
	ds_read_b128 v[8:11], v126 offset:16016
	v_accvgpr_read_b32 v32, a108
	v_accvgpr_read_b32 v34, a110
	;; [unrolled: 1-line block ×4, first 2 shown]
	s_waitcnt lgkmcnt(1)
	v_mul_f64 v[44:45], v[34:35], v[6:7]
	v_fmac_f64_e32 v[44:45], v[32:33], v[4:5]
	v_mul_f64 v[4:5], v[34:35], v[4:5]
	v_fma_f64 v[46:47], v[32:33], v[6:7], -v[4:5]
	v_accvgpr_read_b32 v32, a104
	v_accvgpr_read_b32 v34, a106
	;; [unrolled: 1-line block ×4, first 2 shown]
	v_mul_f64 v[48:49], v[34:35], v[18:19]
	v_mul_f64 v[4:5], v[34:35], v[16:17]
	v_fmac_f64_e32 v[48:49], v[32:33], v[16:17]
	v_fma_f64 v[50:51], v[32:33], v[18:19], -v[4:5]
	ds_read_b128 v[4:7], v126 offset:23296
	ds_read_b128 v[16:19], v126 offset:24752
	v_accvgpr_read_b32 v32, a132
	v_accvgpr_read_b32 v34, a134
	;; [unrolled: 1-line block ×4, first 2 shown]
	s_waitcnt lgkmcnt(1)
	v_mul_f64 v[52:53], v[34:35], v[6:7]
	v_fmac_f64_e32 v[52:53], v[32:33], v[4:5]
	v_mul_f64 v[4:5], v[34:35], v[4:5]
	v_fma_f64 v[54:55], v[32:33], v[6:7], -v[4:5]
	v_accvgpr_read_b32 v32, a120
	v_accvgpr_read_b32 v34, a122
	;; [unrolled: 1-line block ×4, first 2 shown]
	v_mul_f64 v[4:5], v[34:35], v[24:25]
	v_fma_f64 v[58:59], v[32:33], v[26:27], -v[4:5]
	v_mul_f64 v[4:5], v[198:199], v[28:29]
	v_fma_f64 v[62:63], v[196:197], v[30:31], -v[4:5]
	v_mul_f64 v[4:5], v[194:195], v[12:13]
	v_fma_f64 v[66:67], v[192:193], v[14:15], -v[4:5]
	v_accvgpr_read_b32 v12, a140
	v_accvgpr_read_b32 v14, a142
	;; [unrolled: 1-line block ×4, first 2 shown]
	v_mul_f64 v[68:69], v[14:15], v[10:11]
	v_fmac_f64_e32 v[68:69], v[12:13], v[8:9]
	v_mul_f64 v[4:5], v[14:15], v[8:9]
	v_accvgpr_read_b32 v6, a128
	v_accvgpr_read_b32 v8, a130
	;; [unrolled: 1-line block ×3, first 2 shown]
	v_fma_f64 v[70:71], v[12:13], v[10:11], -v[4:5]
	v_accvgpr_read_b32 v7, a129
	v_mul_f64 v[96:97], v[8:9], v[22:23]
	v_mul_f64 v[4:5], v[8:9], v[20:21]
	v_fmac_f64_e32 v[96:97], v[6:7], v[20:21]
	v_fma_f64 v[98:99], v[6:7], v[22:23], -v[4:5]
	ds_read_b128 v[4:7], v126 offset:29120
	v_accvgpr_read_b32 v10, a136
	v_accvgpr_read_b32 v12, a138
	;; [unrolled: 1-line block ×4, first 2 shown]
	s_waitcnt lgkmcnt(1)
	v_mul_f64 v[100:101], v[12:13], v[18:19]
	v_mul_f64 v[8:9], v[12:13], v[16:17]
	v_fmac_f64_e32 v[100:101], v[10:11], v[16:17]
	v_fma_f64 v[102:103], v[10:11], v[18:19], -v[8:9]
	v_accvgpr_read_b32 v8, a124
	v_accvgpr_read_b32 v10, a126
	;; [unrolled: 1-line block ×4, first 2 shown]
	s_waitcnt lgkmcnt(0)
	v_mul_f64 v[112:113], v[10:11], v[6:7]
	v_fmac_f64_e32 v[112:113], v[8:9], v[4:5]
	v_mul_f64 v[4:5], v[10:11], v[4:5]
	v_fma_f64 v[114:115], v[8:9], v[6:7], -v[4:5]
	v_add_f64 v[8:9], v[104:105], v[132:133]
	v_add_f64 v[12:13], v[110:111], v[128:129]
	;; [unrolled: 1-line block ×6, first 2 shown]
	v_mul_f64 v[56:57], v[34:35], v[26:27]
	v_add_f64 v[18:19], v[16:17], v[4:5]
	v_add_f64 v[20:21], v[120:121], v[124:125]
	;; [unrolled: 1-line block ×3, first 2 shown]
	v_fmac_f64_e32 v[56:57], v[32:33], v[24:25]
	v_add_f64 v[22:23], v[20:21], v[4:5]
	ds_read_b128 v[4:7], v126
	ds_read_b128 v[32:35], v126 offset:1456
	v_mul_f64 v[60:61], v[198:199], v[30:31]
	v_fmac_f64_e32 v[60:61], v[196:197], v[28:29]
	v_add_f64 v[24:25], v[104:105], -v[132:133]
	v_add_f64 v[28:29], v[110:111], -v[128:129]
	;; [unrolled: 1-line block ×12, first 2 shown]
	v_add_f64 v[20:21], v[104:105], v[28:29]
	s_waitcnt lgkmcnt(1)
	v_add_f64 v[4:5], v[4:5], v[18:19]
	v_add_f64 v[116:117], v[104:105], -v[28:29]
	v_add_f64 v[104:105], v[24:25], -v[104:105]
	;; [unrolled: 1-line block ×3, first 2 shown]
	v_add_f64 v[20:21], v[20:21], v[24:25]
	v_add_f64 v[24:25], v[106:107], v[30:31]
	;; [unrolled: 1-line block ×3, first 2 shown]
	v_add_f64 v[118:119], v[106:107], -v[30:31]
	v_add_f64 v[106:107], v[26:27], -v[106:107]
	v_add_f64 v[30:31], v[30:31], -v[26:27]
	v_add_f64 v[24:25], v[24:25], v[26:27]
	s_mov_b32 s1, 0xbff2aaaa
	v_pk_mov_b32 v[26:27], v[4:5], v[4:5] op_sel:[0,1]
	s_mov_b32 s14, 0x37e14327
	s_mov_b32 s2, 0x36b3c0b5
	v_fmac_f64_e32 v[26:27], s[0:1], v[18:19]
	v_pk_mov_b32 v[18:19], v[6:7], v[6:7] op_sel:[0,1]
	s_mov_b32 s15, 0x3fe948f6
	s_mov_b32 s3, 0x3fac98ee
	;; [unrolled: 1-line block ×3, first 2 shown]
	v_fmac_f64_e32 v[18:19], s[0:1], v[22:23]
	v_mul_f64 v[8:9], v[8:9], s[14:15]
	s_mov_b32 s5, 0x3fe77f67
	v_mul_f64 v[22:23], v[12:13], s[2:3]
	s_mov_b32 s13, 0xbfe77f67
	s_mov_b32 s12, s4
	;; [unrolled: 1-line block ×4, first 2 shown]
	v_fma_f64 v[22:23], v[110:111], s[4:5], -v[22:23]
	v_fma_f64 v[110:111], v[110:111], s[12:13], -v[8:9]
	v_fmac_f64_e32 v[8:9], s[2:3], v[12:13]
	v_mul_f64 v[10:11], v[10:11], s[14:15]
	v_mul_f64 v[12:13], v[14:15], s[2:3]
	s_mov_b32 s25, 0x3fe11646
	s_mov_b32 s19, 0xbfebfeb5
	;; [unrolled: 1-line block ×3, first 2 shown]
	v_fma_f64 v[12:13], v[16:17], s[4:5], -v[12:13]
	v_fma_f64 v[16:17], v[16:17], s[12:13], -v[10:11]
	v_fmac_f64_e32 v[10:11], s[2:3], v[14:15]
	v_mul_f64 v[116:117], v[116:117], s[24:25]
	s_mov_b32 s17, 0xbfd5d0dc
	v_mul_f64 v[14:15], v[28:29], s[18:19]
	s_mov_b32 s23, 0x3fd5d0dc
	s_mov_b32 s22, s16
	v_fma_f64 v[28:29], v[28:29], s[18:19], -v[116:117]
	v_fmac_f64_e32 v[116:117], s[16:17], v[104:105]
	v_fma_f64 v[104:105], v[104:105], s[22:23], -v[14:15]
	v_mul_f64 v[118:119], v[118:119], s[24:25]
	v_mul_f64 v[14:15], v[30:31], s[18:19]
	s_mov_b32 s20, 0x37c3f68c
	v_fma_f64 v[30:31], v[30:31], s[18:19], -v[118:119]
	v_fmac_f64_e32 v[118:119], s[16:17], v[106:107]
	v_fma_f64 v[106:107], v[106:107], s[22:23], -v[14:15]
	s_mov_b32 s21, 0xbfdc38aa
	v_add_f64 v[120:121], v[8:9], v[26:27]
	v_add_f64 v[14:15], v[22:23], v[26:27]
	;; [unrolled: 1-line block ×6, first 2 shown]
	v_fmac_f64_e32 v[28:29], s[20:21], v[20:21]
	v_fmac_f64_e32 v[30:31], s[20:21], v[24:25]
	;; [unrolled: 1-line block ×6, first 2 shown]
	v_add_f64 v[8:9], v[14:15], -v[30:31]
	v_add_f64 v[10:11], v[28:29], v[26:27]
	v_add_f64 v[12:13], v[30:31], v[14:15]
	v_add_f64 v[14:15], v[26:27], -v[28:29]
	v_add_f64 v[24:25], v[106:107], v[22:23]
	v_add_f64 v[26:27], v[18:19], -v[104:105]
	v_add_f64 v[16:17], v[22:23], -v[106:107]
	v_add_f64 v[18:19], v[104:105], v[18:19]
	v_add_f64 v[104:105], v[36:37], v[56:57]
	;; [unrolled: 1-line block ×4, first 2 shown]
	v_add_f64 v[30:31], v[110:111], -v[116:117]
	v_add_f64 v[20:21], v[120:121], -v[118:119]
	v_add_f64 v[22:23], v[116:117], v[110:111]
	v_add_f64 v[110:111], v[44:45], v[48:49]
	;; [unrolled: 1-line block ×5, first 2 shown]
	v_add_f64 v[40:41], v[40:41], -v[52:53]
	v_add_f64 v[44:45], v[48:49], -v[44:45]
	v_add_f64 v[116:117], v[110:111], v[116:117]
	v_add_f64 v[122:123], v[46:47], v[50:51]
	;; [unrolled: 1-line block ×3, first 2 shown]
	v_add_f64 v[36:37], v[36:37], -v[56:57]
	v_add_f64 v[42:43], v[42:43], -v[54:55]
	;; [unrolled: 1-line block ×6, first 2 shown]
	v_add_f64 v[104:105], v[44:45], v[40:41]
	v_add_f64 v[124:125], v[122:123], v[124:125]
	s_waitcnt lgkmcnt(0)
	v_add_f64 v[32:33], v[32:33], v[116:117]
	v_add_f64 v[38:39], v[38:39], -v[58:59]
	v_add_f64 v[54:55], v[120:121], -v[118:119]
	;; [unrolled: 1-line block ×7, first 2 shown]
	v_add_f64 v[36:37], v[104:105], v[36:37]
	v_add_f64 v[104:105], v[46:47], v[42:43]
	v_mul_f64 v[50:51], v[50:51], s[14:15]
	v_mul_f64 v[118:119], v[52:53], s[2:3]
	v_add_f64 v[34:35], v[34:35], v[124:125]
	v_add_f64 v[110:111], v[46:47], -v[42:43]
	v_add_f64 v[46:47], v[38:39], -v[46:47]
	v_add_f64 v[42:43], v[42:43], -v[38:39]
	v_add_f64 v[38:39], v[104:105], v[38:39]
	v_pk_mov_b32 v[104:105], v[32:33], v[32:33] op_sel:[0,1]
	v_fma_f64 v[118:119], v[48:49], s[4:5], -v[118:119]
	v_fma_f64 v[48:49], v[48:49], s[12:13], -v[50:51]
	v_fmac_f64_e32 v[50:51], s[2:3], v[52:53]
	v_mul_f64 v[52:53], v[56:57], s[14:15]
	v_mul_f64 v[56:57], v[58:59], s[2:3]
	;; [unrolled: 1-line block ×3, first 2 shown]
	v_fmac_f64_e32 v[104:105], s[0:1], v[116:117]
	v_pk_mov_b32 v[116:117], v[34:35], v[34:35] op_sel:[0,1]
	v_fma_f64 v[56:57], v[54:55], s[4:5], -v[56:57]
	v_fma_f64 v[54:55], v[54:55], s[12:13], -v[52:53]
	v_fmac_f64_e32 v[52:53], s[2:3], v[58:59]
	v_mul_f64 v[58:59], v[40:41], s[18:19]
	v_fma_f64 v[120:121], v[40:41], s[18:19], -v[106:107]
	v_mul_f64 v[110:111], v[110:111], s[24:25]
	v_mul_f64 v[40:41], v[42:43], s[18:19]
	v_fmac_f64_e32 v[116:117], s[0:1], v[124:125]
	v_fmac_f64_e32 v[106:107], s[16:17], v[44:45]
	v_fma_f64 v[58:59], v[44:45], s[22:23], -v[58:59]
	v_fma_f64 v[42:43], v[42:43], s[18:19], -v[110:111]
	v_fmac_f64_e32 v[110:111], s[16:17], v[46:47]
	v_fma_f64 v[44:45], v[46:47], s[22:23], -v[40:41]
	v_add_f64 v[50:51], v[50:51], v[104:105]
	v_add_f64 v[40:41], v[118:119], v[104:105]
	;; [unrolled: 1-line block ×6, first 2 shown]
	v_fmac_f64_e32 v[106:107], s[20:21], v[36:37]
	v_fmac_f64_e32 v[110:111], s[20:21], v[38:39]
	;; [unrolled: 1-line block ×6, first 2 shown]
	v_add_f64 v[36:37], v[40:41], -v[42:43]
	v_add_f64 v[38:39], v[120:121], v[48:49]
	v_add_f64 v[40:41], v[42:43], v[40:41]
	v_add_f64 v[42:43], v[48:49], -v[120:121]
	v_add_f64 v[52:53], v[44:45], v[46:47]
	v_add_f64 v[54:55], v[56:57], -v[58:59]
	v_add_f64 v[44:45], v[46:47], -v[44:45]
	v_add_f64 v[46:47], v[58:59], v[56:57]
	v_add_f64 v[56:57], v[110:111], v[50:51]
	v_add_f64 v[58:59], v[104:105], -v[106:107]
	v_add_f64 v[48:49], v[50:51], -v[110:111]
	v_add_f64 v[50:51], v[106:107], v[104:105]
	v_add_f64 v[104:105], v[60:61], v[112:113]
	;; [unrolled: 1-line block ×7, first 2 shown]
	v_add_f64 v[64:65], v[64:65], -v[100:101]
	v_add_f64 v[68:69], v[96:97], -v[68:69]
	v_add_f64 v[116:117], v[110:111], v[116:117]
	v_add_f64 v[122:123], v[70:71], v[98:99]
	;; [unrolled: 1-line block ×3, first 2 shown]
	v_add_f64 v[60:61], v[60:61], -v[112:113]
	v_add_f64 v[66:67], v[66:67], -v[102:103]
	;; [unrolled: 1-line block ×5, first 2 shown]
	v_add_f64 v[110:111], v[68:69], v[64:65]
	v_add_f64 v[124:125], v[122:123], v[124:125]
	;; [unrolled: 1-line block ×3, first 2 shown]
	v_add_f64 v[62:63], v[62:63], -v[114:115]
	v_add_f64 v[96:97], v[106:107], -v[104:105]
	;; [unrolled: 1-line block ×8, first 2 shown]
	v_add_f64 v[60:61], v[110:111], v[60:61]
	v_add_f64 v[110:111], v[70:71], v[66:67]
	v_mul_f64 v[98:99], v[98:99], s[14:15]
	v_mul_f64 v[118:119], v[100:101], s[2:3]
	v_add_f64 v[2:3], v[2:3], v[124:125]
	v_add_f64 v[114:115], v[70:71], -v[66:67]
	v_add_f64 v[70:71], v[62:63], -v[70:71]
	;; [unrolled: 1-line block ×3, first 2 shown]
	v_add_f64 v[62:63], v[110:111], v[62:63]
	v_pk_mov_b32 v[110:111], v[0:1], v[0:1] op_sel:[0,1]
	v_fma_f64 v[118:119], v[96:97], s[4:5], -v[118:119]
	v_fma_f64 v[96:97], v[96:97], s[12:13], -v[98:99]
	v_fmac_f64_e32 v[98:99], s[2:3], v[100:101]
	v_mul_f64 v[100:101], v[104:105], s[14:15]
	v_mul_f64 v[104:105], v[106:107], s[2:3]
	;; [unrolled: 1-line block ×3, first 2 shown]
	v_fmac_f64_e32 v[110:111], s[0:1], v[116:117]
	v_pk_mov_b32 v[116:117], v[2:3], v[2:3] op_sel:[0,1]
	v_fma_f64 v[104:105], v[102:103], s[4:5], -v[104:105]
	v_fma_f64 v[102:103], v[102:103], s[12:13], -v[100:101]
	v_fmac_f64_e32 v[100:101], s[2:3], v[106:107]
	v_mul_f64 v[106:107], v[64:65], s[18:19]
	v_fma_f64 v[120:121], v[64:65], s[18:19], -v[112:113]
	v_mul_f64 v[114:115], v[114:115], s[24:25]
	v_mul_f64 v[64:65], v[66:67], s[18:19]
	v_fmac_f64_e32 v[116:117], s[0:1], v[124:125]
	v_fmac_f64_e32 v[112:113], s[16:17], v[68:69]
	v_fma_f64 v[106:107], v[68:69], s[22:23], -v[106:107]
	v_fma_f64 v[68:69], v[66:67], s[18:19], -v[114:115]
	v_fmac_f64_e32 v[114:115], s[16:17], v[70:71]
	v_fma_f64 v[122:123], v[70:71], s[22:23], -v[64:65]
	v_add_f64 v[124:125], v[98:99], v[110:111]
	v_add_f64 v[70:71], v[118:119], v[110:111]
	;; [unrolled: 1-line block ×6, first 2 shown]
	v_fmac_f64_e32 v[112:113], s[20:21], v[60:61]
	v_fmac_f64_e32 v[114:115], s[20:21], v[62:63]
	;; [unrolled: 1-line block ×6, first 2 shown]
	v_add_f64 v[64:65], v[70:71], -v[68:69]
	v_add_f64 v[66:67], v[120:121], v[96:97]
	v_add_f64 v[68:69], v[68:69], v[70:71]
	v_add_f64 v[70:71], v[96:97], -v[120:121]
	v_add_f64 v[96:97], v[122:123], v[110:111]
	v_add_f64 v[98:99], v[102:103], -v[106:107]
	v_add_f64 v[100:101], v[110:111], -v[122:123]
	v_add_f64 v[102:103], v[106:107], v[102:103]
	v_add_f64 v[104:105], v[114:115], v[124:125]
	v_add_f64 v[106:107], v[118:119], -v[112:113]
	v_add_f64 v[110:111], v[124:125], -v[114:115]
	v_add_f64 v[112:113], v[112:113], v[118:119]
	s_barrier
	ds_write_b128 v190, v[4:7]
	ds_write_b128 v190, v[28:31] offset:208
	ds_write_b128 v190, v[24:27] offset:416
	ds_write_b128 v190, v[8:11] offset:624
	ds_write_b128 v190, v[12:15] offset:832
	ds_write_b128 v190, v[16:19] offset:1040
	ds_write_b128 v190, v[20:23] offset:1248
	ds_write_b128 v191, v[32:35]
	ds_write_b128 v191, v[56:59] offset:208
	ds_write_b128 v191, v[52:55] offset:416
	ds_write_b128 v191, v[36:39] offset:624
	ds_write_b128 v191, v[40:43] offset:832
	ds_write_b128 v191, v[44:47] offset:1040
	ds_write_b128 v191, v[48:51] offset:1248
	;; [unrolled: 7-line block ×3, first 2 shown]
	s_waitcnt lgkmcnt(0)
	s_barrier
	ds_read_b128 v[8:11], v126
	ds_read_b128 v[4:7], v126 offset:1456
	ds_read_b128 v[12:15], v126 offset:8736
	;; [unrolled: 1-line block ×19, first 2 shown]
	s_waitcnt lgkmcnt(11)
	v_mul_f64 v[110:111], v[94:95], v[38:39]
	v_fmac_f64_e32 v[110:111], v[92:93], v[36:37]
	v_mul_f64 v[36:37], v[94:95], v[36:37]
	v_mul_f64 v[118:119], v[82:83], v[14:15]
	;; [unrolled: 1-line block ×3, first 2 shown]
	v_fma_f64 v[112:113], v[92:93], v[38:39], -v[36:37]
	s_waitcnt lgkmcnt(9)
	v_mul_f64 v[36:37], v[94:95], v[40:41]
	v_fmac_f64_e32 v[118:119], v[80:81], v[12:13]
	v_mul_f64 v[12:13], v[82:83], v[12:13]
	v_mul_f64 v[122:123], v[74:75], v[22:23]
	v_fmac_f64_e32 v[124:125], v[80:81], v[16:17]
	v_mul_f64 v[16:17], v[82:83], v[16:17]
	v_fma_f64 v[116:117], v[92:93], v[42:43], -v[36:37]
	v_fma_f64 v[12:13], v[80:81], v[14:15], -v[12:13]
	s_waitcnt lgkmcnt(7)
	v_mul_f64 v[36:37], v[78:79], v[48:49]
	v_fmac_f64_e32 v[122:123], v[72:73], v[20:21]
	v_mul_f64 v[20:21], v[74:75], v[20:21]
	v_fma_f64 v[80:81], v[80:81], v[18:19], -v[16:17]
	s_waitcnt lgkmcnt(5)
	v_mul_f64 v[82:83], v[78:79], v[58:59]
	v_mul_f64 v[16:17], v[78:79], v[56:57]
	v_fma_f64 v[120:121], v[76:77], v[50:51], -v[36:37]
	v_fma_f64 v[20:21], v[72:73], v[22:23], -v[20:21]
	s_waitcnt lgkmcnt(3)
	v_mul_f64 v[22:23], v[90:91], v[70:71]
	v_mul_f64 v[36:37], v[90:91], v[68:69]
	v_fmac_f64_e32 v[82:83], v[76:77], v[56:57]
	v_fma_f64 v[56:57], v[76:77], v[58:59], -v[16:17]
	v_mul_f64 v[58:59], v[74:75], v[26:27]
	v_mul_f64 v[16:17], v[74:75], v[24:25]
	;; [unrolled: 1-line block ×3, first 2 shown]
	v_fmac_f64_e32 v[22:23], v[88:89], v[68:69]
	v_fma_f64 v[68:69], v[88:89], v[70:71], -v[36:37]
	v_mul_f64 v[70:71], v[86:87], v[30:31]
	v_fmac_f64_e32 v[58:59], v[72:73], v[24:25]
	v_fma_f64 v[72:73], v[72:73], v[26:27], -v[16:17]
	s_waitcnt lgkmcnt(1)
	v_mul_f64 v[16:17], v[90:91], v[100:101]
	v_fmac_f64_e32 v[14:15], v[76:77], v[48:49]
	v_fmac_f64_e32 v[70:71], v[84:85], v[28:29]
	v_mul_f64 v[28:29], v[86:87], v[28:29]
	v_fma_f64 v[76:77], v[88:89], v[102:103], -v[16:17]
	v_mul_f64 v[78:79], v[86:87], v[34:35]
	v_mul_f64 v[16:17], v[86:87], v[32:33]
	v_fma_f64 v[28:29], v[84:85], v[30:31], -v[28:29]
	v_fmac_f64_e32 v[78:79], v[84:85], v[32:33]
	v_fma_f64 v[84:85], v[84:85], v[34:35], -v[16:17]
	v_mul_f64 v[16:17], v[168:169], v[44:45]
	v_mul_f64 v[114:115], v[94:95], v[42:43]
	;; [unrolled: 1-line block ×3, first 2 shown]
	v_fma_f64 v[42:43], v[166:167], v[46:47], -v[16:17]
	v_mul_f64 v[16:17], v[164:165], v[52:53]
	v_fmac_f64_e32 v[114:115], v[92:93], v[40:41]
	ds_read_b128 v[92:95], v126 offset:29120
	v_fmac_f64_e32 v[36:37], v[166:167], v[44:45]
	v_fma_f64 v[44:45], v[162:163], v[54:55], -v[16:17]
	v_mul_f64 v[16:17], v[160:161], v[64:65]
	v_accvgpr_read_b32 v24, a92
	v_fma_f64 v[46:47], v[158:159], v[66:67], -v[16:17]
	v_mul_f64 v[16:17], v[156:157], v[96:97]
	v_accvgpr_read_b32 v26, a94
	v_accvgpr_read_b32 v27, a95
	v_mul_f64 v[74:75], v[90:91], v[102:103]
	v_fma_f64 v[50:51], v[154:155], v[98:99], -v[16:17]
	v_accvgpr_read_b32 v25, a93
	s_waitcnt lgkmcnt(1)
	v_mul_f64 v[86:87], v[26:27], v[106:107]
	v_mul_f64 v[16:17], v[26:27], v[104:105]
	v_fmac_f64_e32 v[74:75], v[88:89], v[100:101]
	v_fmac_f64_e32 v[86:87], v[24:25], v[104:105]
	v_fma_f64 v[88:89], v[24:25], v[106:107], -v[16:17]
	v_accvgpr_read_b32 v24, a84
	v_accvgpr_read_b32 v26, a86
	;; [unrolled: 1-line block ×4, first 2 shown]
	s_waitcnt lgkmcnt(0)
	v_mul_f64 v[90:91], v[26:27], v[94:95]
	v_mul_f64 v[16:17], v[26:27], v[92:93]
	;; [unrolled: 1-line block ×3, first 2 shown]
	v_fmac_f64_e32 v[90:91], v[24:25], v[92:93]
	v_fma_f64 v[92:93], v[24:25], v[94:95], -v[16:17]
	v_add_f64 v[16:17], v[110:111], v[70:71]
	v_add_f64 v[18:19], v[112:113], v[28:29]
	v_add_f64 v[26:27], v[112:113], -v[28:29]
	v_add_f64 v[28:29], v[118:119], v[22:23]
	v_fmac_f64_e32 v[38:39], v[162:163], v[52:53]
	v_mul_f64 v[40:41], v[160:161], v[66:67]
	v_add_f64 v[30:31], v[12:13], v[68:69]
	v_add_f64 v[32:33], v[14:15], v[122:123]
	;; [unrolled: 1-line block ×3, first 2 shown]
	v_fmac_f64_e32 v[40:41], v[158:159], v[64:65]
	v_add_f64 v[34:35], v[120:121], v[20:21]
	v_add_f64 v[54:55], v[30:31], v[18:19]
	v_add_f64 v[64:65], v[28:29], -v[16:17]
	v_add_f64 v[16:17], v[16:17], -v[32:33]
	;; [unrolled: 1-line block ×3, first 2 shown]
	v_add_f64 v[32:33], v[32:33], v[52:53]
	v_mul_f64 v[48:49], v[156:157], v[98:99]
	v_add_f64 v[22:23], v[118:119], -v[22:23]
	v_add_f64 v[12:13], v[12:13], -v[68:69]
	;; [unrolled: 1-line block ×7, first 2 shown]
	v_add_f64 v[34:35], v[34:35], v[54:55]
	v_add_f64 v[8:9], v[8:9], v[32:33]
	v_fmac_f64_e32 v[48:49], v[154:155], v[96:97]
	v_add_f64 v[24:25], v[110:111], -v[70:71]
	v_add_f64 v[68:69], v[14:15], v[22:23]
	v_add_f64 v[70:71], v[20:21], v[12:13]
	v_add_f64 v[94:95], v[14:15], -v[22:23]
	v_add_f64 v[96:97], v[20:21], -v[12:13]
	v_add_f64 v[10:11], v[10:11], v[34:35]
	v_pk_mov_b32 v[98:99], v[8:9], v[8:9] op_sel:[0,1]
	v_add_f64 v[14:15], v[24:25], -v[14:15]
	v_add_f64 v[20:21], v[26:27], -v[20:21]
	;; [unrolled: 1-line block ×4, first 2 shown]
	v_add_f64 v[24:25], v[68:69], v[24:25]
	v_add_f64 v[26:27], v[70:71], v[26:27]
	v_mul_f64 v[16:17], v[16:17], s[14:15]
	v_mul_f64 v[18:19], v[18:19], s[14:15]
	;; [unrolled: 1-line block ×6, first 2 shown]
	v_fmac_f64_e32 v[98:99], s[0:1], v[32:33]
	v_pk_mov_b32 v[32:33], v[10:11], v[10:11] op_sel:[0,1]
	v_mul_f64 v[94:95], v[22:23], s[18:19]
	v_mul_f64 v[96:97], v[12:13], s[18:19]
	v_fmac_f64_e32 v[32:33], s[0:1], v[34:35]
	v_fma_f64 v[34:35], v[64:65], s[4:5], -v[52:53]
	v_fma_f64 v[52:53], v[66:67], s[4:5], -v[54:55]
	;; [unrolled: 1-line block ×3, first 2 shown]
	v_fmac_f64_e32 v[16:17], s[2:3], v[28:29]
	v_fma_f64 v[28:29], v[66:67], s[12:13], -v[18:19]
	v_fmac_f64_e32 v[18:19], s[2:3], v[30:31]
	v_fma_f64 v[30:31], v[22:23], s[18:19], -v[68:69]
	;; [unrolled: 2-line block ×4, first 2 shown]
	v_fma_f64 v[94:95], v[20:21], s[22:23], -v[96:97]
	v_add_f64 v[100:101], v[18:19], v[32:33]
	v_add_f64 v[34:35], v[34:35], v[98:99]
	;; [unrolled: 1-line block ×3, first 2 shown]
	v_fmac_f64_e32 v[68:69], s[20:21], v[24:25]
	v_fmac_f64_e32 v[30:31], s[20:21], v[24:25]
	;; [unrolled: 1-line block ×3, first 2 shown]
	v_add_f64 v[96:97], v[16:17], v[98:99]
	v_add_f64 v[54:55], v[54:55], v[98:99]
	;; [unrolled: 1-line block ×3, first 2 shown]
	v_fmac_f64_e32 v[70:71], s[20:21], v[26:27]
	v_fmac_f64_e32 v[66:67], s[20:21], v[24:25]
	;; [unrolled: 1-line block ×3, first 2 shown]
	v_add_f64 v[14:15], v[100:101], -v[68:69]
	v_add_f64 v[20:21], v[34:35], -v[64:65]
	v_add_f64 v[22:23], v[30:31], v[52:53]
	v_add_f64 v[24:25], v[64:65], v[34:35]
	v_add_f64 v[26:27], v[52:53], -v[30:31]
	v_add_f64 v[34:35], v[68:69], v[100:101]
	v_add_f64 v[52:53], v[114:115], v[78:79]
	;; [unrolled: 1-line block ×5, first 2 shown]
	v_add_f64 v[18:19], v[32:33], -v[66:67]
	v_add_f64 v[28:29], v[54:55], -v[94:95]
	v_add_f64 v[30:31], v[66:67], v[32:33]
	v_add_f64 v[32:33], v[96:97], -v[70:71]
	v_add_f64 v[54:55], v[116:117], v[84:85]
	;; [unrolled: 2-line block ×4, first 2 shown]
	v_add_f64 v[80:81], v[56:57], v[72:73]
	v_add_f64 v[56:57], v[72:73], -v[56:57]
	v_add_f64 v[72:73], v[68:69], v[52:53]
	v_add_f64 v[58:59], v[58:59], -v[82:83]
	v_add_f64 v[82:83], v[70:71], v[54:55]
	v_add_f64 v[72:73], v[78:79], v[72:73]
	v_add_f64 v[66:67], v[116:117], -v[84:85]
	v_add_f64 v[74:75], v[124:125], -v[74:75]
	;; [unrolled: 1-line block ×5, first 2 shown]
	v_add_f64 v[78:79], v[80:81], v[82:83]
	v_add_f64 v[4:5], v[4:5], v[72:73]
	v_add_f64 v[94:95], v[70:71], -v[54:55]
	v_add_f64 v[54:55], v[54:55], -v[80:81]
	;; [unrolled: 1-line block ×3, first 2 shown]
	v_add_f64 v[96:97], v[58:59], v[74:75]
	v_add_f64 v[98:99], v[56:57], v[76:77]
	v_add_f64 v[100:101], v[58:59], -v[74:75]
	v_add_f64 v[102:103], v[56:57], -v[76:77]
	v_add_f64 v[76:77], v[76:77], -v[66:67]
	v_add_f64 v[6:7], v[6:7], v[78:79]
	v_pk_mov_b32 v[104:105], v[4:5], v[4:5] op_sel:[0,1]
	v_add_f64 v[58:59], v[64:65], -v[58:59]
	v_add_f64 v[56:57], v[66:67], -v[56:57]
	;; [unrolled: 1-line block ×3, first 2 shown]
	v_add_f64 v[64:65], v[96:97], v[64:65]
	v_add_f64 v[66:67], v[98:99], v[66:67]
	v_mul_f64 v[52:53], v[52:53], s[14:15]
	v_mul_f64 v[54:55], v[54:55], s[14:15]
	v_mul_f64 v[80:81], v[68:69], s[2:3]
	v_mul_f64 v[82:83], v[70:71], s[2:3]
	v_mul_f64 v[96:97], v[100:101], s[24:25]
	v_mul_f64 v[98:99], v[102:103], s[24:25]
	v_mul_f64 v[102:103], v[76:77], s[18:19]
	v_fmac_f64_e32 v[104:105], s[0:1], v[72:73]
	v_pk_mov_b32 v[72:73], v[6:7], v[6:7] op_sel:[0,1]
	v_fmac_f64_e32 v[72:73], s[0:1], v[78:79]
	v_fma_f64 v[78:79], v[84:85], s[4:5], -v[80:81]
	v_fma_f64 v[80:81], v[94:95], s[4:5], -v[82:83]
	;; [unrolled: 1-line block ×3, first 2 shown]
	v_fmac_f64_e32 v[52:53], s[2:3], v[68:69]
	v_fma_f64 v[68:69], v[94:95], s[12:13], -v[54:55]
	v_fmac_f64_e32 v[54:55], s[2:3], v[70:71]
	v_fma_f64 v[70:71], v[74:75], s[18:19], -v[96:97]
	v_fma_f64 v[84:85], v[56:57], s[22:23], -v[102:103]
	v_mul_f64 v[100:101], v[74:75], s[18:19]
	v_fma_f64 v[74:75], v[76:77], s[18:19], -v[98:99]
	v_fmac_f64_e32 v[98:99], s[16:17], v[56:57]
	v_add_f64 v[80:81], v[80:81], v[72:73]
	v_add_f64 v[82:83], v[82:83], v[104:105]
	v_fmac_f64_e32 v[70:71], s[20:21], v[64:65]
	v_fmac_f64_e32 v[84:85], s[20:21], v[66:67]
	v_fma_f64 v[76:77], v[58:59], s[22:23], -v[100:101]
	v_add_f64 v[100:101], v[54:55], v[72:73]
	v_add_f64 v[102:103], v[68:69], v[72:73]
	v_fmac_f64_e32 v[98:99], s[20:21], v[66:67]
	v_fmac_f64_e32 v[74:75], s[20:21], v[66:67]
	v_add_f64 v[56:57], v[84:85], v[82:83]
	v_add_f64 v[66:67], v[70:71], v[80:81]
	v_add_f64 v[70:71], v[80:81], -v[70:71]
	v_add_f64 v[72:73], v[82:83], -v[84:85]
	v_add_f64 v[80:81], v[36:37], v[90:91]
	v_add_f64 v[84:85], v[38:39], v[86:87]
	;; [unrolled: 1-line block ×3, first 2 shown]
	v_add_f64 v[36:37], v[36:37], -v[90:91]
	v_add_f64 v[90:91], v[44:45], v[88:89]
	v_add_f64 v[38:39], v[38:39], -v[86:87]
	v_add_f64 v[86:87], v[40:41], v[48:49]
	;; [unrolled: 2-line block ×3, first 2 shown]
	v_fmac_f64_e32 v[96:97], s[16:17], v[58:59]
	v_add_f64 v[44:45], v[44:45], -v[88:89]
	v_add_f64 v[88:89], v[46:47], v[50:51]
	v_add_f64 v[46:47], v[50:51], -v[46:47]
	v_add_f64 v[50:51], v[90:91], v[82:83]
	v_add_f64 v[48:49], v[86:87], v[48:49]
	;; [unrolled: 1-line block ×4, first 2 shown]
	v_fmac_f64_e32 v[96:97], s[20:21], v[64:65]
	v_fmac_f64_e32 v[76:77], s[20:21], v[64:65]
	v_add_f64 v[42:43], v[42:43], -v[92:93]
	v_add_f64 v[50:51], v[88:89], v[50:51]
	v_add_f64 v[0:1], v[0:1], v[48:49]
	;; [unrolled: 1-line block ×3, first 2 shown]
	v_add_f64 v[54:55], v[100:101], -v[96:97]
	v_add_f64 v[58:59], v[102:103], -v[76:77]
	;; [unrolled: 1-line block ×3, first 2 shown]
	v_add_f64 v[68:69], v[74:75], v[78:79]
	v_add_f64 v[74:75], v[76:77], v[102:103]
	v_add_f64 v[76:77], v[94:95], -v[98:99]
	v_add_f64 v[78:79], v[96:97], v[100:101]
	v_add_f64 v[92:93], v[84:85], -v[80:81]
	v_add_f64 v[94:95], v[90:91], -v[82:83]
	;; [unrolled: 1-line block ×6, first 2 shown]
	v_add_f64 v[96:97], v[40:41], v[38:39]
	v_add_f64 v[98:99], v[46:47], v[44:45]
	v_add_f64 v[100:101], v[40:41], -v[38:39]
	v_add_f64 v[102:103], v[46:47], -v[44:45]
	;; [unrolled: 1-line block ×4, first 2 shown]
	v_add_f64 v[2:3], v[2:3], v[50:51]
	v_pk_mov_b32 v[104:105], v[0:1], v[0:1] op_sel:[0,1]
	v_add_f64 v[40:41], v[36:37], -v[40:41]
	v_add_f64 v[46:47], v[42:43], -v[46:47]
	v_add_f64 v[36:37], v[96:97], v[36:37]
	v_add_f64 v[42:43], v[98:99], v[42:43]
	v_mul_f64 v[80:81], v[80:81], s[14:15]
	v_mul_f64 v[82:83], v[82:83], s[14:15]
	;; [unrolled: 1-line block ×8, first 2 shown]
	v_fmac_f64_e32 v[104:105], s[0:1], v[48:49]
	v_pk_mov_b32 v[48:49], v[2:3], v[2:3] op_sel:[0,1]
	v_fmac_f64_e32 v[48:49], s[0:1], v[50:51]
	v_fma_f64 v[50:51], s[2:3], v[84:85], v[80:81]
	v_fma_f64 v[84:85], v[92:93], s[4:5], -v[86:87]
	v_fma_f64 v[86:87], v[94:95], s[4:5], -v[88:89]
	;; [unrolled: 1-line block ×4, first 2 shown]
	v_fmac_f64_e32 v[82:83], s[2:3], v[90:91]
	v_fma_f64 v[90:91], s[16:17], v[40:41], v[96:97]
	v_fma_f64 v[92:93], v[38:39], s[18:19], -v[96:97]
	v_fma_f64 v[94:95], v[44:45], s[18:19], -v[98:99]
	v_fmac_f64_e32 v[98:99], s[16:17], v[46:47]
	v_fma_f64 v[96:97], v[40:41], s[22:23], -v[100:101]
	v_fma_f64 v[100:101], v[46:47], s[22:23], -v[102:103]
	v_add_f64 v[102:103], v[50:51], v[104:105]
	v_add_f64 v[106:107], v[82:83], v[48:49]
	;; [unrolled: 1-line block ×6, first 2 shown]
	v_fmac_f64_e32 v[90:91], s[20:21], v[36:37]
	v_fmac_f64_e32 v[98:99], s[20:21], v[42:43]
	;; [unrolled: 1-line block ×6, first 2 shown]
	v_add_f64 v[36:37], v[98:99], v[102:103]
	v_add_f64 v[38:39], v[106:107], -v[90:91]
	v_add_f64 v[40:41], v[100:101], v[80:81]
	v_add_f64 v[42:43], v[84:85], -v[96:97]
	v_add_f64 v[44:45], v[50:51], -v[94:95]
	v_add_f64 v[46:47], v[92:93], v[82:83]
	v_add_f64 v[48:49], v[94:95], v[50:51]
	v_add_f64 v[50:51], v[82:83], -v[92:93]
	v_add_f64 v[80:81], v[80:81], -v[100:101]
	v_add_f64 v[82:83], v[96:97], v[84:85]
	v_add_f64 v[84:85], v[102:103], -v[98:99]
	v_add_f64 v[86:87], v[90:91], v[106:107]
	s_barrier
	ds_write_b128 v126, v[8:11]
	ds_write_b128 v126, v[12:15] offset:1456
	ds_write_b128 v126, v[16:19] offset:2912
	;; [unrolled: 1-line block ×20, first 2 shown]
	s_waitcnt lgkmcnt(0)
	s_barrier
	ds_read_b128 v[0:3], v126
	ds_read_b128 v[4:7], v126 offset:1456
	ds_read_b128 v[28:31], v126 offset:20384
	;; [unrolled: 1-line block ×20, first 2 shown]
	s_waitcnt lgkmcnt(4)
	v_mul_f64 v[88:89], v[184:185], v[74:75]
	v_fmac_f64_e32 v[88:89], v[182:183], v[72:73]
	v_mul_f64 v[72:73], v[184:185], v[72:73]
	v_fma_f64 v[72:73], v[182:183], v[74:75], -v[72:73]
	v_mul_f64 v[74:75], v[188:189], v[30:31]
	v_fmac_f64_e32 v[74:75], v[186:187], v[28:29]
	v_mul_f64 v[28:29], v[188:189], v[28:29]
	v_fma_f64 v[90:91], v[186:187], v[30:31], -v[28:29]
	v_mul_f64 v[28:29], v[202:203], v[36:37]
	v_fma_f64 v[94:95], v[200:201], v[38:39], -v[28:29]
	;; [unrolled: 2-line block ×9, first 2 shown]
	s_waitcnt lgkmcnt(2)
	v_mul_f64 v[28:29], v[234:235], v[76:77]
	v_mul_f64 v[128:129], v[234:235], v[78:79]
	v_fma_f64 v[78:79], v[232:233], v[78:79], -v[28:29]
	v_mul_f64 v[28:29], v[238:239], v[68:69]
	v_fma_f64 v[132:133], v[236:237], v[70:71], -v[28:29]
	s_waitcnt lgkmcnt(1)
	v_mul_f64 v[28:29], v[242:243], v[80:81]
	v_mul_f64 v[92:93], v[202:203], v[38:39]
	;; [unrolled: 1-line block ×3, first 2 shown]
	v_fma_f64 v[136:137], v[240:241], v[82:83], -v[28:29]
	s_waitcnt lgkmcnt(0)
	v_mul_f64 v[28:29], v[246:247], v[84:85]
	v_add_f64 v[30:31], v[88:89], v[74:75]
	s_mov_b32 s0, 0xe8584caa
	v_fmac_f64_e32 v[92:93], v[200:201], v[36:37]
	v_fmac_f64_e32 v[96:97], v[204:205], v[32:33]
	v_mul_f64 v[138:139], v[246:247], v[86:87]
	v_fma_f64 v[86:87], v[244:245], v[86:87], -v[28:29]
	v_add_f64 v[28:29], v[0:1], v[88:89]
	v_fmac_f64_e32 v[0:1], -0.5, v[30:31]
	v_add_f64 v[30:31], v[72:73], -v[90:91]
	s_mov_b32 s1, 0xbfebb67a
	s_mov_b32 s3, 0x3febb67a
	s_mov_b32 s2, s0
	v_add_f64 v[34:35], v[72:73], v[90:91]
	v_mul_f64 v[100:101], v[210:211], v[42:43]
	v_mul_f64 v[104:105], v[214:215], v[46:47]
	v_fma_f64 v[32:33], s[0:1], v[30:31], v[0:1]
	v_fmac_f64_e32 v[0:1], s[2:3], v[30:31]
	v_add_f64 v[30:31], v[2:3], v[72:73]
	v_fmac_f64_e32 v[2:3], -0.5, v[34:35]
	v_add_f64 v[36:37], v[88:89], -v[74:75]
	v_add_f64 v[38:39], v[92:93], v[96:97]
	v_fmac_f64_e32 v[100:101], v[208:209], v[40:41]
	v_fmac_f64_e32 v[104:105], v[212:213], v[44:45]
	v_fma_f64 v[34:35], s[2:3], v[36:37], v[2:3]
	v_fmac_f64_e32 v[2:3], s[0:1], v[36:37]
	v_add_f64 v[36:37], v[4:5], v[92:93]
	v_fmac_f64_e32 v[4:5], -0.5, v[38:39]
	v_add_f64 v[38:39], v[94:95], -v[98:99]
	v_add_f64 v[42:43], v[94:95], v[98:99]
	v_mul_f64 v[110:111], v[218:219], v[54:55]
	v_mul_f64 v[114:115], v[222:223], v[50:51]
	v_fma_f64 v[40:41], s[0:1], v[38:39], v[4:5]
	v_fmac_f64_e32 v[4:5], s[2:3], v[38:39]
	v_add_f64 v[38:39], v[6:7], v[94:95]
	v_fmac_f64_e32 v[6:7], -0.5, v[42:43]
	v_add_f64 v[44:45], v[92:93], -v[96:97]
	v_add_f64 v[46:47], v[100:101], v[104:105]
	v_fmac_f64_e32 v[110:111], v[216:217], v[52:53]
	v_fmac_f64_e32 v[114:115], v[220:221], v[48:49]
	v_fma_f64 v[42:43], s[2:3], v[44:45], v[6:7]
	v_fmac_f64_e32 v[6:7], s[0:1], v[44:45]
	v_add_f64 v[44:45], v[8:9], v[100:101]
	v_fmac_f64_e32 v[8:9], -0.5, v[46:47]
	v_add_f64 v[46:47], v[102:103], -v[106:107]
	;; [unrolled: 16-line block ×3, first 2 shown]
	v_add_f64 v[58:59], v[112:113], v[116:117]
	v_mul_f64 v[130:131], v[238:239], v[70:71]
	v_fma_f64 v[56:57], s[0:1], v[54:55], v[12:13]
	v_fmac_f64_e32 v[12:13], s[2:3], v[54:55]
	v_add_f64 v[54:55], v[14:15], v[112:113]
	v_fmac_f64_e32 v[14:15], -0.5, v[58:59]
	v_add_f64 v[64:65], v[110:111], -v[114:115]
	v_add_f64 v[66:67], v[118:119], v[122:123]
	v_fmac_f64_e32 v[128:129], v[232:233], v[76:77]
	v_fmac_f64_e32 v[130:131], v[236:237], v[68:69]
	v_fma_f64 v[58:59], s[2:3], v[64:65], v[14:15]
	v_fmac_f64_e32 v[14:15], s[0:1], v[64:65]
	v_add_f64 v[64:65], v[16:17], v[118:119]
	v_fmac_f64_e32 v[16:17], -0.5, v[66:67]
	v_add_f64 v[66:67], v[120:121], -v[124:125]
	v_add_f64 v[70:71], v[120:121], v[124:125]
	v_add_f64 v[28:29], v[28:29], v[74:75]
	v_fma_f64 v[68:69], s[0:1], v[66:67], v[16:17]
	v_fmac_f64_e32 v[16:17], s[2:3], v[66:67]
	v_add_f64 v[66:67], v[18:19], v[120:121]
	v_fmac_f64_e32 v[18:19], -0.5, v[70:71]
	v_add_f64 v[72:73], v[118:119], -v[122:123]
	v_add_f64 v[74:75], v[128:129], v[130:131]
	v_mul_f64 v[134:135], v[242:243], v[82:83]
	v_fma_f64 v[70:71], s[2:3], v[72:73], v[18:19]
	v_fmac_f64_e32 v[18:19], s[0:1], v[72:73]
	v_add_f64 v[72:73], v[20:21], v[128:129]
	v_fmac_f64_e32 v[20:21], -0.5, v[74:75]
	v_add_f64 v[74:75], v[78:79], -v[132:133]
	v_fmac_f64_e32 v[134:135], v[240:241], v[80:81]
	v_fmac_f64_e32 v[138:139], v[244:245], v[84:85]
	v_fma_f64 v[76:77], s[0:1], v[74:75], v[20:21]
	v_fmac_f64_e32 v[20:21], s[2:3], v[74:75]
	v_add_f64 v[74:75], v[22:23], v[78:79]
	v_add_f64 v[78:79], v[78:79], v[132:133]
	v_fmac_f64_e32 v[22:23], -0.5, v[78:79]
	v_add_f64 v[80:81], v[128:129], -v[130:131]
	v_add_f64 v[82:83], v[134:135], v[138:139]
	v_fma_f64 v[78:79], s[2:3], v[80:81], v[22:23]
	v_fmac_f64_e32 v[22:23], s[0:1], v[80:81]
	v_add_f64 v[80:81], v[24:25], v[134:135]
	v_fmac_f64_e32 v[24:25], -0.5, v[82:83]
	v_add_f64 v[82:83], v[136:137], -v[86:87]
	v_fma_f64 v[84:85], s[0:1], v[82:83], v[24:25]
	v_fmac_f64_e32 v[24:25], s[2:3], v[82:83]
	v_add_f64 v[82:83], v[26:27], v[136:137]
	v_add_f64 v[82:83], v[82:83], v[86:87]
	v_add_f64 v[86:87], v[136:137], v[86:87]
	v_add_f64 v[30:31], v[30:31], v[90:91]
	v_fmac_f64_e32 v[26:27], -0.5, v[86:87]
	v_add_f64 v[88:89], v[134:135], -v[138:139]
	v_add_f64 v[36:37], v[36:37], v[96:97]
	v_add_f64 v[38:39], v[38:39], v[98:99]
	;; [unrolled: 1-line block ×11, first 2 shown]
	v_fma_f64 v[86:87], s[2:3], v[88:89], v[26:27]
	v_fmac_f64_e32 v[26:27], s[0:1], v[88:89]
	ds_write_b128 v126, v[28:31]
	ds_write_b128 v126, v[32:35] offset:10192
	ds_write_b128 v126, v[0:3] offset:20384
	;; [unrolled: 1-line block ×20, first 2 shown]
	s_waitcnt lgkmcnt(0)
	s_barrier
	ds_read_b128 v[0:3], v126
	v_accvgpr_read_b32 v140, a2
	v_mad_u64_u32 v[60:61], s[26:27], s10, v140, 0
	v_mov_b32_e32 v62, v61
	v_accvgpr_read_b32 v10, a32
	v_mad_u64_u32 v[4:5], s[0:1], s11, v140, v[62:63]
	v_accvgpr_read_b32 v12, a34
	v_accvgpr_read_b32 v13, a35
	v_mov_b32_e32 v61, v4
	ds_read_b128 v[4:7], v126 offset:2352
	v_accvgpr_read_b32 v11, a33
	s_waitcnt lgkmcnt(1)
	v_mul_f64 v[8:9], v[12:13], v[2:3]
	v_fmac_f64_e32 v[8:9], v[10:11], v[0:1]
	s_mov_b32 s2, 0xa36ec936
	v_mul_f64 v[0:1], v[12:13], v[0:1]
	s_mov_b32 s3, 0x3f4125a4
	v_fma_f64 v[0:1], v[10:11], v[2:3], -v[0:1]
	v_accvgpr_read_b32 v3, a0
	v_mul_f64 v[10:11], v[0:1], s[2:3]
	v_mad_u64_u32 v[0:1], s[0:1], s8, v3, 0
	v_mov_b32_e32 v2, v1
	v_mad_u64_u32 v[2:3], s[0:1], s9, v3, v[2:3]
	v_mov_b32_e32 v1, v2
	v_lshlrev_b64 v[2:3], 4, v[60:61]
	v_mov_b32_e32 v12, s7
	v_add_co_u32_e64 v2, s[0:1], s6, v2
	v_addc_co_u32_e64 v3, s[0:1], v12, v3, s[0:1]
	v_lshlrev_b64 v[0:1], 4, v[0:1]
	v_add_co_u32_e64 v12, s[0:1], v2, v0
	v_mul_f64 v[8:9], v[8:9], s[2:3]
	v_addc_co_u32_e64 v13, s[0:1], v3, v1, s[0:1]
	global_store_dwordx4 v[12:13], v[8:11], off
	s_mul_i32 s0, s9, 0x93
	v_accvgpr_read_b32 v8, a8
	v_accvgpr_read_b32 v10, a10
	;; [unrolled: 1-line block ×4, first 2 shown]
	s_waitcnt lgkmcnt(0)
	v_mul_f64 v[0:1], v[10:11], v[6:7]
	v_mul_f64 v[2:3], v[10:11], v[4:5]
	v_fmac_f64_e32 v[0:1], v[8:9], v[4:5]
	v_fma_f64 v[2:3], v[8:9], v[6:7], -v[2:3]
	s_mul_hi_u32 s1, s8, 0x93
	ds_read_b128 v[4:7], v126 offset:4704
	s_add_i32 s1, s1, s0
	s_mul_i32 s0, s8, 0x93
	s_lshl_b64 s[4:5], s[0:1], 4
	v_mov_b32_e32 v14, s5
	v_add_co_u32_e64 v12, s[0:1], s4, v12
	v_accvgpr_read_b32 v16, a28
	v_mul_f64 v[0:1], v[0:1], s[2:3]
	v_mul_f64 v[2:3], v[2:3], s[2:3]
	v_addc_co_u32_e64 v13, s[0:1], v13, v14, s[0:1]
	v_accvgpr_read_b32 v18, a30
	v_accvgpr_read_b32 v19, a31
	global_store_dwordx4 v[12:13], v[0:3], off
	ds_read_b128 v[0:3], v126 offset:7056
	v_accvgpr_read_b32 v17, a29
	s_waitcnt lgkmcnt(1)
	v_mul_f64 v[8:9], v[18:19], v[6:7]
	v_fmac_f64_e32 v[8:9], v[16:17], v[4:5]
	v_mul_f64 v[4:5], v[18:19], v[4:5]
	v_fma_f64 v[4:5], v[16:17], v[6:7], -v[4:5]
	v_add_co_u32_e64 v12, s[0:1], s4, v12
	v_mul_f64 v[8:9], v[8:9], s[2:3]
	v_mul_f64 v[10:11], v[4:5], s[2:3]
	v_addc_co_u32_e64 v13, s[0:1], v13, v14, s[0:1]
	global_store_dwordx4 v[12:13], v[8:11], off
	v_accvgpr_read_b32 v6, a16
	v_accvgpr_read_b32 v8, a18
	;; [unrolled: 1-line block ×4, first 2 shown]
	s_waitcnt lgkmcnt(0)
	v_mul_f64 v[4:5], v[8:9], v[2:3]
	v_fmac_f64_e32 v[4:5], v[6:7], v[0:1]
	v_mul_f64 v[0:1], v[8:9], v[0:1]
	v_fma_f64 v[0:1], v[6:7], v[2:3], -v[0:1]
	v_mul_f64 v[6:7], v[0:1], s[2:3]
	ds_read_b128 v[0:3], v126 offset:9408
	v_add_co_u32_e64 v12, s[0:1], s4, v12
	v_accvgpr_read_b32 v16, a40
	v_mul_f64 v[4:5], v[4:5], s[2:3]
	v_addc_co_u32_e64 v13, s[0:1], v13, v14, s[0:1]
	v_accvgpr_read_b32 v18, a42
	v_accvgpr_read_b32 v19, a43
	global_store_dwordx4 v[12:13], v[4:7], off
	ds_read_b128 v[4:7], v126 offset:11760
	v_accvgpr_read_b32 v17, a41
	s_waitcnt lgkmcnt(1)
	v_mul_f64 v[8:9], v[18:19], v[2:3]
	v_fmac_f64_e32 v[8:9], v[16:17], v[0:1]
	v_mul_f64 v[0:1], v[18:19], v[0:1]
	v_fma_f64 v[0:1], v[16:17], v[2:3], -v[0:1]
	v_add_co_u32_e64 v12, s[0:1], s4, v12
	v_mul_f64 v[8:9], v[8:9], s[2:3]
	v_mul_f64 v[10:11], v[0:1], s[2:3]
	v_addc_co_u32_e64 v13, s[0:1], v13, v14, s[0:1]
	global_store_dwordx4 v[12:13], v[8:11], off
	v_add_co_u32_e64 v12, s[0:1], s4, v12
	v_accvgpr_read_b32 v8, a20
	v_accvgpr_read_b32 v10, a22
	;; [unrolled: 1-line block ×4, first 2 shown]
	s_waitcnt lgkmcnt(0)
	v_mul_f64 v[0:1], v[10:11], v[6:7]
	v_mul_f64 v[2:3], v[10:11], v[4:5]
	v_fmac_f64_e32 v[0:1], v[8:9], v[4:5]
	v_fma_f64 v[2:3], v[8:9], v[6:7], -v[2:3]
	ds_read_b128 v[4:7], v126 offset:14112
	v_accvgpr_read_b32 v19, a7
	v_mul_f64 v[0:1], v[0:1], s[2:3]
	v_mul_f64 v[2:3], v[2:3], s[2:3]
	v_addc_co_u32_e64 v13, s[0:1], v13, v14, s[0:1]
	v_accvgpr_read_b32 v18, a6
	global_store_dwordx4 v[12:13], v[0:3], off
	ds_read_b128 v[0:3], v126 offset:16464
	v_accvgpr_read_b32 v17, a5
	v_accvgpr_read_b32 v16, a4
	s_waitcnt lgkmcnt(1)
	v_mul_f64 v[8:9], v[18:19], v[6:7]
	v_fmac_f64_e32 v[8:9], v[16:17], v[4:5]
	v_mul_f64 v[4:5], v[18:19], v[4:5]
	v_fma_f64 v[4:5], v[16:17], v[6:7], -v[4:5]
	v_add_co_u32_e64 v12, s[0:1], s4, v12
	v_mul_f64 v[8:9], v[8:9], s[2:3]
	v_mul_f64 v[10:11], v[4:5], s[2:3]
	v_addc_co_u32_e64 v13, s[0:1], v13, v14, s[0:1]
	global_store_dwordx4 v[12:13], v[8:11], off
	v_accvgpr_read_b32 v6, a48
	v_accvgpr_read_b32 v8, a50
	;; [unrolled: 1-line block ×4, first 2 shown]
	s_waitcnt lgkmcnt(0)
	v_mul_f64 v[4:5], v[8:9], v[2:3]
	v_fmac_f64_e32 v[4:5], v[6:7], v[0:1]
	v_mul_f64 v[0:1], v[8:9], v[0:1]
	v_fma_f64 v[0:1], v[6:7], v[2:3], -v[0:1]
	v_mul_f64 v[6:7], v[0:1], s[2:3]
	ds_read_b128 v[0:3], v126 offset:18816
	v_add_co_u32_e64 v12, s[0:1], s4, v12
	v_accvgpr_read_b32 v19, a15
	v_mul_f64 v[4:5], v[4:5], s[2:3]
	v_addc_co_u32_e64 v13, s[0:1], v13, v14, s[0:1]
	v_accvgpr_read_b32 v18, a14
	global_store_dwordx4 v[12:13], v[4:7], off
	ds_read_b128 v[4:7], v126 offset:21168
	v_accvgpr_read_b32 v17, a13
	v_accvgpr_read_b32 v16, a12
	s_waitcnt lgkmcnt(1)
	v_mul_f64 v[8:9], v[18:19], v[2:3]
	v_fmac_f64_e32 v[8:9], v[16:17], v[0:1]
	v_mul_f64 v[0:1], v[18:19], v[0:1]
	v_fma_f64 v[0:1], v[16:17], v[2:3], -v[0:1]
	v_add_co_u32_e64 v12, s[0:1], s4, v12
	v_mul_f64 v[8:9], v[8:9], s[2:3]
	v_mul_f64 v[10:11], v[0:1], s[2:3]
	v_addc_co_u32_e64 v13, s[0:1], v13, v14, s[0:1]
	global_store_dwordx4 v[12:13], v[8:11], off
	v_add_co_u32_e64 v12, s[0:1], s4, v12
	v_accvgpr_read_b32 v8, a52
	v_accvgpr_read_b32 v10, a54
	;; [unrolled: 1-line block ×4, first 2 shown]
	s_waitcnt lgkmcnt(0)
	v_mul_f64 v[0:1], v[10:11], v[6:7]
	v_mul_f64 v[2:3], v[10:11], v[4:5]
	v_fmac_f64_e32 v[0:1], v[8:9], v[4:5]
	v_fma_f64 v[2:3], v[8:9], v[6:7], -v[2:3]
	ds_read_b128 v[4:7], v126 offset:23520
	v_accvgpr_read_b32 v16, a24
	v_mul_f64 v[0:1], v[0:1], s[2:3]
	v_mul_f64 v[2:3], v[2:3], s[2:3]
	v_addc_co_u32_e64 v13, s[0:1], v13, v14, s[0:1]
	v_accvgpr_read_b32 v18, a26
	v_accvgpr_read_b32 v19, a27
	global_store_dwordx4 v[12:13], v[0:3], off
	ds_read_b128 v[0:3], v126 offset:25872
	v_accvgpr_read_b32 v17, a25
	s_waitcnt lgkmcnt(1)
	v_mul_f64 v[8:9], v[18:19], v[6:7]
	v_fmac_f64_e32 v[8:9], v[16:17], v[4:5]
	v_mul_f64 v[4:5], v[18:19], v[4:5]
	v_fma_f64 v[4:5], v[16:17], v[6:7], -v[4:5]
	v_add_co_u32_e64 v12, s[0:1], s4, v12
	v_mul_f64 v[8:9], v[8:9], s[2:3]
	v_mul_f64 v[10:11], v[4:5], s[2:3]
	v_addc_co_u32_e64 v13, s[0:1], v13, v14, s[0:1]
	global_store_dwordx4 v[12:13], v[8:11], off
	v_accvgpr_read_b32 v6, a36
	v_accvgpr_read_b32 v8, a38
	;; [unrolled: 1-line block ×4, first 2 shown]
	s_waitcnt lgkmcnt(0)
	v_mul_f64 v[4:5], v[8:9], v[2:3]
	v_fmac_f64_e32 v[4:5], v[6:7], v[0:1]
	v_mul_f64 v[0:1], v[8:9], v[0:1]
	v_fma_f64 v[0:1], v[6:7], v[2:3], -v[0:1]
	v_mul_f64 v[6:7], v[0:1], s[2:3]
	ds_read_b128 v[0:3], v126 offset:28224
	v_add_co_u32_e64 v8, s[0:1], s4, v12
	v_addc_co_u32_e64 v9, s[0:1], v13, v14, s[0:1]
	v_accvgpr_read_b32 v10, a44
	v_mul_f64 v[4:5], v[4:5], s[2:3]
	v_accvgpr_read_b32 v12, a46
	v_accvgpr_read_b32 v13, a47
	global_store_dwordx4 v[8:9], v[4:7], off
	v_accvgpr_read_b32 v11, a45
	s_waitcnt lgkmcnt(0)
	v_mul_f64 v[4:5], v[12:13], v[2:3]
	v_fmac_f64_e32 v[4:5], v[10:11], v[0:1]
	v_mul_f64 v[0:1], v[12:13], v[0:1]
	v_fma_f64 v[0:1], v[10:11], v[2:3], -v[0:1]
	v_mul_f64 v[6:7], v[0:1], s[2:3]
	v_add_co_u32_e64 v0, s[0:1], s4, v8
	v_mul_f64 v[4:5], v[4:5], s[2:3]
	v_addc_co_u32_e64 v1, s[0:1], v9, v14, s[0:1]
	global_store_dwordx4 v[0:1], v[4:7], off
	s_and_b64 exec, exec, vcc
	s_cbranch_execz .LBB0_15
; %bb.14:
	global_load_dwordx4 v[2:5], v[108:109], off offset:1456
	ds_read_b128 v[6:9], v126 offset:1456
	ds_read_b128 v[10:13], v126 offset:3808
	v_mov_b32_e32 v14, 0xffff9770
	s_mul_i32 s6, s9, 0xffff9770
	v_mad_u64_u32 v[14:15], s[0:1], s8, v14, v[0:1]
	s_sub_i32 s0, s6, s8
	v_add_u32_e32 v15, s0, v15
	s_movk_i32 s0, 0x1000
	v_mov_b32_e32 v18, s5
	s_waitcnt vmcnt(0) lgkmcnt(1)
	v_mul_f64 v[0:1], v[8:9], v[4:5]
	v_mul_f64 v[4:5], v[6:7], v[4:5]
	v_fmac_f64_e32 v[0:1], v[6:7], v[2:3]
	v_fma_f64 v[2:3], v[2:3], v[8:9], -v[4:5]
	v_mul_f64 v[0:1], v[0:1], s[2:3]
	v_mul_f64 v[2:3], v[2:3], s[2:3]
	global_store_dwordx4 v[14:15], v[0:3], off
	global_load_dwordx4 v[0:3], v[108:109], off offset:3808
	v_add_co_u32_e32 v4, vcc, s0, v108
	v_addc_co_u32_e32 v5, vcc, 0, v109, vcc
	v_add_co_u32_e32 v14, vcc, s4, v14
	v_addc_co_u32_e32 v15, vcc, v15, v18, vcc
	s_movk_i32 s0, 0x2000
	s_waitcnt vmcnt(0) lgkmcnt(0)
	v_mul_f64 v[6:7], v[12:13], v[2:3]
	v_mul_f64 v[2:3], v[10:11], v[2:3]
	v_fmac_f64_e32 v[6:7], v[10:11], v[0:1]
	v_fma_f64 v[2:3], v[0:1], v[12:13], -v[2:3]
	v_mul_f64 v[0:1], v[6:7], s[2:3]
	v_mul_f64 v[2:3], v[2:3], s[2:3]
	global_store_dwordx4 v[14:15], v[0:3], off
	global_load_dwordx4 v[0:3], v[4:5], off offset:2064
	ds_read_b128 v[4:7], v126 offset:6160
	ds_read_b128 v[8:11], v126 offset:8512
	v_add_co_u32_e32 v12, vcc, s0, v108
	v_addc_co_u32_e32 v13, vcc, 0, v109, vcc
	v_add_co_u32_e32 v14, vcc, s4, v14
	v_addc_co_u32_e32 v15, vcc, v15, v18, vcc
	s_movk_i32 s0, 0x3000
	s_waitcnt vmcnt(0) lgkmcnt(1)
	v_mul_f64 v[16:17], v[6:7], v[2:3]
	v_mul_f64 v[2:3], v[4:5], v[2:3]
	v_fmac_f64_e32 v[16:17], v[4:5], v[0:1]
	v_fma_f64 v[2:3], v[0:1], v[6:7], -v[2:3]
	v_mul_f64 v[0:1], v[16:17], s[2:3]
	v_mul_f64 v[2:3], v[2:3], s[2:3]
	global_store_dwordx4 v[14:15], v[0:3], off
	global_load_dwordx4 v[0:3], v[12:13], off offset:320
	v_add_co_u32_e32 v14, vcc, s4, v14
	v_addc_co_u32_e32 v15, vcc, v15, v18, vcc
	s_waitcnt vmcnt(0) lgkmcnt(0)
	v_mul_f64 v[4:5], v[10:11], v[2:3]
	v_mul_f64 v[2:3], v[8:9], v[2:3]
	v_fmac_f64_e32 v[4:5], v[8:9], v[0:1]
	v_fma_f64 v[2:3], v[0:1], v[10:11], -v[2:3]
	v_mul_f64 v[0:1], v[4:5], s[2:3]
	v_mul_f64 v[2:3], v[2:3], s[2:3]
	global_store_dwordx4 v[14:15], v[0:3], off
	global_load_dwordx4 v[0:3], v[12:13], off offset:2672
	ds_read_b128 v[4:7], v126 offset:10864
	ds_read_b128 v[8:11], v126 offset:13216
	v_add_co_u32_e32 v12, vcc, s0, v108
	v_addc_co_u32_e32 v13, vcc, 0, v109, vcc
	v_add_co_u32_e32 v14, vcc, s4, v14
	v_addc_co_u32_e32 v15, vcc, v15, v18, vcc
	s_movk_i32 s0, 0x4000
	s_waitcnt vmcnt(0) lgkmcnt(1)
	v_mul_f64 v[16:17], v[6:7], v[2:3]
	v_mul_f64 v[2:3], v[4:5], v[2:3]
	v_fmac_f64_e32 v[16:17], v[4:5], v[0:1]
	v_fma_f64 v[2:3], v[0:1], v[6:7], -v[2:3]
	v_mul_f64 v[0:1], v[16:17], s[2:3]
	v_mul_f64 v[2:3], v[2:3], s[2:3]
	global_store_dwordx4 v[14:15], v[0:3], off
	global_load_dwordx4 v[0:3], v[12:13], off offset:928
	v_add_co_u32_e32 v14, vcc, s4, v14
	v_addc_co_u32_e32 v15, vcc, v15, v18, vcc
	;; [unrolled: 27-line block ×4, first 2 shown]
	v_add_co_u32_e32 v14, vcc, s4, v14
	v_addc_co_u32_e32 v15, vcc, v15, v18, vcc
	s_movk_i32 s0, 0x7000
	s_waitcnt vmcnt(0) lgkmcnt(0)
	v_mul_f64 v[4:5], v[10:11], v[2:3]
	v_mul_f64 v[2:3], v[8:9], v[2:3]
	v_fmac_f64_e32 v[4:5], v[8:9], v[0:1]
	v_fma_f64 v[2:3], v[0:1], v[10:11], -v[2:3]
	v_mul_f64 v[0:1], v[4:5], s[2:3]
	v_mul_f64 v[2:3], v[2:3], s[2:3]
	global_store_dwordx4 v[14:15], v[0:3], off
	global_load_dwordx4 v[0:3], v[12:13], off offset:400
	ds_read_b128 v[4:7], v126 offset:24976
	ds_read_b128 v[8:11], v126 offset:27328
	v_add_co_u32_e32 v14, vcc, s4, v14
	v_addc_co_u32_e32 v15, vcc, v15, v18, vcc
	s_waitcnt vmcnt(0) lgkmcnt(1)
	v_mul_f64 v[16:17], v[6:7], v[2:3]
	v_mul_f64 v[2:3], v[4:5], v[2:3]
	v_fmac_f64_e32 v[16:17], v[4:5], v[0:1]
	v_fma_f64 v[2:3], v[0:1], v[6:7], -v[2:3]
	v_mul_f64 v[0:1], v[16:17], s[2:3]
	v_mul_f64 v[2:3], v[2:3], s[2:3]
	global_store_dwordx4 v[14:15], v[0:3], off
	global_load_dwordx4 v[0:3], v[12:13], off offset:2752
	v_add_co_u32_e32 v4, vcc, s0, v108
	v_addc_co_u32_e32 v5, vcc, 0, v109, vcc
	v_add_co_u32_e32 v12, vcc, s4, v14
	v_addc_co_u32_e32 v13, vcc, v15, v18, vcc
	s_waitcnt vmcnt(0) lgkmcnt(0)
	v_mul_f64 v[6:7], v[10:11], v[2:3]
	v_mul_f64 v[2:3], v[8:9], v[2:3]
	v_fmac_f64_e32 v[6:7], v[8:9], v[0:1]
	v_fma_f64 v[2:3], v[0:1], v[10:11], -v[2:3]
	v_mul_f64 v[0:1], v[6:7], s[2:3]
	v_mul_f64 v[2:3], v[2:3], s[2:3]
	global_store_dwordx4 v[12:13], v[0:3], off
	global_load_dwordx4 v[0:3], v[4:5], off offset:1008
	ds_read_b128 v[4:7], v126 offset:29680
	s_waitcnt vmcnt(0) lgkmcnt(0)
	v_mul_f64 v[8:9], v[6:7], v[2:3]
	v_mul_f64 v[2:3], v[4:5], v[2:3]
	v_fmac_f64_e32 v[8:9], v[4:5], v[0:1]
	v_fma_f64 v[2:3], v[0:1], v[6:7], -v[2:3]
	v_add_co_u32_e32 v4, vcc, s4, v12
	v_mul_f64 v[0:1], v[8:9], s[2:3]
	v_mul_f64 v[2:3], v[2:3], s[2:3]
	v_addc_co_u32_e32 v5, vcc, v13, v18, vcc
	global_store_dwordx4 v[4:5], v[0:3], off
.LBB0_15:
	s_endpgm
	.section	.rodata,"a",@progbits
	.p2align	6, 0x0
	.amdhsa_kernel bluestein_single_back_len1911_dim1_dp_op_CI_CI
		.amdhsa_group_segment_fixed_size 30576
		.amdhsa_private_segment_fixed_size 0
		.amdhsa_kernarg_size 104
		.amdhsa_user_sgpr_count 6
		.amdhsa_user_sgpr_private_segment_buffer 1
		.amdhsa_user_sgpr_dispatch_ptr 0
		.amdhsa_user_sgpr_queue_ptr 0
		.amdhsa_user_sgpr_kernarg_segment_ptr 1
		.amdhsa_user_sgpr_dispatch_id 0
		.amdhsa_user_sgpr_flat_scratch_init 0
		.amdhsa_user_sgpr_kernarg_preload_length 0
		.amdhsa_user_sgpr_kernarg_preload_offset 0
		.amdhsa_user_sgpr_private_segment_size 0
		.amdhsa_uses_dynamic_stack 0
		.amdhsa_system_sgpr_private_segment_wavefront_offset 0
		.amdhsa_system_sgpr_workgroup_id_x 1
		.amdhsa_system_sgpr_workgroup_id_y 0
		.amdhsa_system_sgpr_workgroup_id_z 0
		.amdhsa_system_sgpr_workgroup_info 0
		.amdhsa_system_vgpr_workitem_id 0
		.amdhsa_next_free_vgpr 408
		.amdhsa_next_free_sgpr 52
		.amdhsa_accum_offset 256
		.amdhsa_reserve_vcc 1
		.amdhsa_reserve_flat_scratch 0
		.amdhsa_float_round_mode_32 0
		.amdhsa_float_round_mode_16_64 0
		.amdhsa_float_denorm_mode_32 3
		.amdhsa_float_denorm_mode_16_64 3
		.amdhsa_dx10_clamp 1
		.amdhsa_ieee_mode 1
		.amdhsa_fp16_overflow 0
		.amdhsa_tg_split 0
		.amdhsa_exception_fp_ieee_invalid_op 0
		.amdhsa_exception_fp_denorm_src 0
		.amdhsa_exception_fp_ieee_div_zero 0
		.amdhsa_exception_fp_ieee_overflow 0
		.amdhsa_exception_fp_ieee_underflow 0
		.amdhsa_exception_fp_ieee_inexact 0
		.amdhsa_exception_int_div_zero 0
	.end_amdhsa_kernel
	.text
.Lfunc_end0:
	.size	bluestein_single_back_len1911_dim1_dp_op_CI_CI, .Lfunc_end0-bluestein_single_back_len1911_dim1_dp_op_CI_CI
                                        ; -- End function
	.section	.AMDGPU.csdata,"",@progbits
; Kernel info:
; codeLenInByte = 39340
; NumSgprs: 56
; NumVgprs: 256
; NumAgprs: 152
; TotalNumVgprs: 408
; ScratchSize: 0
; MemoryBound: 0
; FloatMode: 240
; IeeeMode: 1
; LDSByteSize: 30576 bytes/workgroup (compile time only)
; SGPRBlocks: 6
; VGPRBlocks: 50
; NumSGPRsForWavesPerEU: 56
; NumVGPRsForWavesPerEU: 408
; AccumOffset: 256
; Occupancy: 1
; WaveLimiterHint : 1
; COMPUTE_PGM_RSRC2:SCRATCH_EN: 0
; COMPUTE_PGM_RSRC2:USER_SGPR: 6
; COMPUTE_PGM_RSRC2:TRAP_HANDLER: 0
; COMPUTE_PGM_RSRC2:TGID_X_EN: 1
; COMPUTE_PGM_RSRC2:TGID_Y_EN: 0
; COMPUTE_PGM_RSRC2:TGID_Z_EN: 0
; COMPUTE_PGM_RSRC2:TIDIG_COMP_CNT: 0
; COMPUTE_PGM_RSRC3_GFX90A:ACCUM_OFFSET: 63
; COMPUTE_PGM_RSRC3_GFX90A:TG_SPLIT: 0
	.text
	.p2alignl 6, 3212836864
	.fill 256, 4, 3212836864
	.type	__hip_cuid_2810d6869aee50c5,@object ; @__hip_cuid_2810d6869aee50c5
	.section	.bss,"aw",@nobits
	.globl	__hip_cuid_2810d6869aee50c5
__hip_cuid_2810d6869aee50c5:
	.byte	0                               ; 0x0
	.size	__hip_cuid_2810d6869aee50c5, 1

	.ident	"AMD clang version 19.0.0git (https://github.com/RadeonOpenCompute/llvm-project roc-6.4.0 25133 c7fe45cf4b819c5991fe208aaa96edf142730f1d)"
	.section	".note.GNU-stack","",@progbits
	.addrsig
	.addrsig_sym __hip_cuid_2810d6869aee50c5
	.amdgpu_metadata
---
amdhsa.kernels:
  - .agpr_count:     152
    .args:
      - .actual_access:  read_only
        .address_space:  global
        .offset:         0
        .size:           8
        .value_kind:     global_buffer
      - .actual_access:  read_only
        .address_space:  global
        .offset:         8
        .size:           8
        .value_kind:     global_buffer
      - .actual_access:  read_only
        .address_space:  global
        .offset:         16
        .size:           8
        .value_kind:     global_buffer
      - .actual_access:  read_only
        .address_space:  global
        .offset:         24
        .size:           8
        .value_kind:     global_buffer
      - .actual_access:  read_only
        .address_space:  global
        .offset:         32
        .size:           8
        .value_kind:     global_buffer
      - .offset:         40
        .size:           8
        .value_kind:     by_value
      - .address_space:  global
        .offset:         48
        .size:           8
        .value_kind:     global_buffer
      - .address_space:  global
        .offset:         56
        .size:           8
        .value_kind:     global_buffer
      - .address_space:  global
        .offset:         64
        .size:           8
        .value_kind:     global_buffer
      - .address_space:  global
        .offset:         72
        .size:           8
        .value_kind:     global_buffer
      - .offset:         80
        .size:           4
        .value_kind:     by_value
      - .address_space:  global
        .offset:         88
        .size:           8
        .value_kind:     global_buffer
      - .address_space:  global
        .offset:         96
        .size:           8
        .value_kind:     global_buffer
    .group_segment_fixed_size: 30576
    .kernarg_segment_align: 8
    .kernarg_segment_size: 104
    .language:       OpenCL C
    .language_version:
      - 2
      - 0
    .max_flat_workgroup_size: 91
    .name:           bluestein_single_back_len1911_dim1_dp_op_CI_CI
    .private_segment_fixed_size: 0
    .sgpr_count:     56
    .sgpr_spill_count: 0
    .symbol:         bluestein_single_back_len1911_dim1_dp_op_CI_CI.kd
    .uniform_work_group_size: 1
    .uses_dynamic_stack: false
    .vgpr_count:     408
    .vgpr_spill_count: 0
    .wavefront_size: 64
amdhsa.target:   amdgcn-amd-amdhsa--gfx90a
amdhsa.version:
  - 1
  - 2
...

	.end_amdgpu_metadata
